;; amdgpu-corpus repo=ROCm/aiter kind=harvested arch=n/a opt=n/a

/root/src/amdgpu-assembly/repos/ROCm__aiter/hsa/gfx942/fmoe_2stages/fmoe_stage1_bf16_pertokenFp8_doweight_g1u1_80x256_pf3.co:	file format elf64-amdgpu

Disassembly of section .text:

0000000000002a00 <_ZN5aiter53fmoe_stage1_bf16_pertokenFp8_doweight_g1u1_80x256_pf3E>:
	s_and_b32 s1, s1, 0xffff                                   // 000000002A00: 8601FF01 0000FFFF
	s_load_dwordx2 s[8:9], s[0:1], 0x0                         // 000000002A08: C0060200 00000000
	s_load_dwordx2 s[20:21], s[0:1], 0x10                      // 000000002A10: C0060500 00000010
	s_load_dwordx2 s[24:25], s[0:1], 0x20                      // 000000002A18: C0060600 00000020
	s_load_dwordx2 s[48:49], s[0:1], 0x30                      // 000000002A20: C0060C00 00000030
	s_load_dwordx2 s[28:29], s[0:1], 0x40                      // 000000002A28: C0060700 00000040
	s_load_dwordx2 s[32:33], s[0:1], 0x50                      // 000000002A30: C0060800 00000050
	s_load_dwordx2 s[36:37], s[0:1], 0x60                      // 000000002A38: C0060900 00000060
	s_load_dwordx2 s[12:13], s[0:1], 0x70                      // 000000002A40: C0060300 00000070
	s_load_dwordx2 s[44:45], s[0:1], 0x80                      // 000000002A48: C0060B00 00000080
	s_mov_b32 s89, 0                                           // 000000002A50: BED90080
	s_load_dword s64, s[0:1], 0x90                             // 000000002A54: C0021000 00000090
	s_load_dword s65, s[0:1], 0xa0                             // 000000002A5C: C0021040 000000A0
	s_load_dword s66, s[0:1], 0xb0                             // 000000002A64: C0021080 000000B0
	s_load_dword s67, s[0:1], 0xc0                             // 000000002A6C: C00210C0 000000C0
	s_load_dword s68, s[0:1], 0xd0                             // 000000002A74: C0021100 000000D0
	s_load_dword s69, s[0:1], 0xe0                             // 000000002A7C: C0021140 000000E0
	s_load_dword s71, s[0:1], 0xf0                             // 000000002A84: C00211C0 000000F0
	s_load_dword s72, s[0:1], 0x100                            // 000000002A8C: C0021200 00000100
	s_load_dword s74, s[0:1], 0x110                            // 000000002A94: C0021280 00000110
	s_load_dword s76, s[0:1], 0x120                            // 000000002A9C: C0021300 00000120
	s_load_dword s56, s[0:1], 0x130                            // 000000002AA4: C0020E00 00000130
	s_load_dword s88, s[0:1], 0x140                            // 000000002AAC: C0021600 00000140
	s_load_dword s89, s[0:1], 0x150                            // 000000002AB4: C0021640 00000150
	s_load_dwordx2 s[40:41], s[0:1], 0x160                     // 000000002ABC: C0060A00 00000160
	v_lshrrev_b32_e32 v1, 10, v0                               // 000000002AC4: 2002008A
	v_lshrrev_b32_e32 v2, 10, v1                               // 000000002AC8: 2004028A
	v_and_b32_e32 v2, 0x3ff, v2                                // 000000002ACC: 260404FF 000003FF
	v_and_b32_e32 v1, 0x3ff, v1                                // 000000002AD4: 260202FF 000003FF
	v_and_b32_e32 v0, 0x3ff, v0                                // 000000002ADC: 260000FF 000003FF
	v_lshrrev_b32_e32 v3, 6, v0                                // 000000002AE4: 20060086
	v_and_b32_e32 v0, 63, v0                                   // 000000002AE8: 260000BF
	s_mov_b32 s2, s2                                           // 000000002AEC: BE820002
	s_mov_b32 s3, s3                                           // 000000002AF0: BE830003
	s_mov_b32 s4, s4                                           // 000000002AF4: BE840004
	v_readfirstlane_b32 s7, v3                                 // 000000002AF8: 7E0E0503
	s_waitcnt lgkmcnt(0)                                       // 000000002AFC: BF8CC07F
	s_and_b32 s49, s49, 0xffff                                 // 000000002B00: 8631FF31 0000FFFF
	s_load_dword s48, s[48:49], 0x0                            // 000000002B08: C0020C18 00000000
	s_and_b32 s45, s45, 0xffff                                 // 000000002B10: 862DFF2D 0000FFFF
	s_and_b32 s9, s9, 0xffff                                   // 000000002B18: 8609FF09 0000FFFF
	s_mul_i32 s60, s66, s68                                    // 000000002B20: 923C4442
	s_mul_i32 s61, s66, 4                                      // 000000002B24: 923D8442
	s_mov_b32 s22, s60                                         // 000000002B28: BE96003C
	s_mov_b32 s26, -16                                         // 000000002B2C: BE9A00D0
	s_mov_b32 s30, s61                                         // 000000002B30: BE9E003D
	s_mov_b32 s14, 0x140                                       // 000000002B34: BE8E00FF 00000140
	s_mov_b32 s38, -16                                         // 000000002B3C: BEA600D0
	s_mov_b32 s10, -16                                         // 000000002B40: BE8A00D0
	s_mov_b32 s34, 0x400                                       // 000000002B44: BEA200FF 00000400
	s_mov_b32 s23, 0x20000                                     // 000000002B4C: BE9700FF 00020000
	s_mov_b32 s27, 0x20000                                     // 000000002B54: BE9B00FF 00020000
	s_mov_b32 s31, 0x20000                                     // 000000002B5C: BE9F00FF 00020000
	s_mov_b32 s35, 0x20000                                     // 000000002B64: BEA300FF 00020000
	s_mov_b32 s15, 0x20000                                     // 000000002B6C: BE8F00FF 00020000
	s_mov_b32 s39, 0x20000                                     // 000000002B74: BEA700FF 00020000
	s_mov_b32 s11, 0x20000                                     // 000000002B7C: BE8B00FF 00020000
	s_and_b32 s21, s21, 0xffff                                 // 000000002B84: 8615FF15 0000FFFF
	s_and_b32 s25, s25, 0xffff                                 // 000000002B8C: 8619FF19 0000FFFF
	s_and_b32 s29, s29, 0xffff                                 // 000000002B94: 861DFF1D 0000FFFF
	s_and_b32 s33, s33, 0xffff                                 // 000000002B9C: 8621FF21 0000FFFF
	s_and_b32 s13, s13, 0xffff                                 // 000000002BA4: 860DFF0D 0000FFFF
	s_and_b32 s37, s37, 0xffff                                 // 000000002BAC: 8625FF25 0000FFFF
	s_or_b32 s21, s21, 0x40000                                 // 000000002BB4: 8715FF15 00040000
	s_or_b32 s25, s25, 0x40000                                 // 000000002BBC: 8719FF19 00040000
	s_or_b32 s29, s29, 0x40000                                 // 000000002BC4: 871DFF1D 00040000
	s_or_b32 s33, s33, 0x40000                                 // 000000002BCC: 8721FF21 00040000
	s_or_b32 s13, s13, 0x40000                                 // 000000002BD4: 870DFF0D 00040000
	s_or_b32 s37, s37, 0x40000                                 // 000000002BDC: 8725FF25 00040000
	s_mov_b32 s42, -16                                         // 000000002BE4: BEAA00D0
	s_mov_b32 s43, 0x20000                                     // 000000002BE8: BEAB00FF 00020000
	s_and_b32 s41, s41, 0xffff                                 // 000000002BF0: 8629FF29 0000FFFF
	s_or_b32 s41, s41, 0x40000                                 // 000000002BF8: 8729FF29 00040000
	v_accvgpr_write_b32 a175, 0                                // 000000002C00: D3D940AF 18000080
	v_mov_b32_e32 v228, 0                                      // 000000002C08: 7FC80280
	s_waitcnt lgkmcnt(0)                                       // 000000002C0C: BF8CC07F
	s_mul_i32 s60, s3, 0x50                                    // 000000002C10: 923CFF03 00000050
	s_cmp_lt_i32 s60, s48                                      // 000000002C18: BF04303C
	s_cbranch_scc0 label_3D34                                  // 000000002C1C: BF843CA9
	s_mov_b32 s80, 0                                           // 000000002C20: BED00080
	s_lshr_b32 s81, s64, s88                                   // 000000002C24: 8F515840
	s_mul_i32 s60, s3, 4                                       // 000000002C28: 923C8403
	s_add_u32 s44, s60, s44                                    // 000000002C2C: 802C2C3C
	s_addc_u32 s45, 0, s45                                     // 000000002C30: 822D2D80
	s_load_dword s5, s[44:45], 0x0                             // 000000002C34: C0020156 00000000
	s_mul_i32 s60, s3, 0x50                                    // 000000002C3C: 923CFF03 00000050
	s_mul_i32 s60, 4, s60                                      // 000000002C44: 923C3C84
	s_add_u32 s12, s60, s12                                    // 000000002C48: 800C0C3C
	s_addc_u32 s13, 0, s13                                     // 000000002C4C: 820D0D80
	v_and_b32_e32 v4, 15, v0                                   // 000000002C50: 2608008F
	v_lshlrev_b32_e32 v4, 2, v4                                // 000000002C54: 24080882
	buffer_load_dword v30, v4, s[12:15], 0 offen               // 000000002C58: E0501000 80031E04
	v_add_u32_e32 v4, 64, v4                                   // 000000002C60: 680808C0
	buffer_load_dword v31, v4, s[12:15], 0 offen               // 000000002C64: E0501000 80031F04
	v_add_u32_e32 v4, 64, v4                                   // 000000002C6C: 680808C0
	buffer_load_dword v32, v4, s[12:15], 0 offen               // 000000002C70: E0501000 80032004
	v_add_u32_e32 v4, 64, v4                                   // 000000002C78: 680808C0
	buffer_load_dword v33, v4, s[12:15], 0 offen               // 000000002C7C: E0501000 80032104
	v_add_u32_e32 v4, 64, v4                                   // 000000002C84: 680808C0
	buffer_load_dword v34, v4, s[12:15], 0 offen               // 000000002C88: E0501000 80032204
	v_add_u32_e32 v4, 64, v4                                   // 000000002C90: 680808C0
	s_mul_i32 s60, 4, s7                                       // 000000002C94: 923C0784
	v_lshlrev_b32_e32 v4, 4, v0                                // 000000002C98: 24080084
	v_add_u32_e32 v4, s60, v4                                  // 000000002C9C: 6808083C
	buffer_load_dword v3, v4, s[12:15], 0 offen                // 000000002CA0: E0501000 80030304
	v_mov_b32_e32 v64, 0                                       // 000000002CA8: 7E800280
	v_mov_b32_e32 v144, 0                                      // 000000002CAC: 7F200280
	v_mov_b32_e32 v65, 0                                       // 000000002CB0: 7E820280
	v_mov_b32_e32 v145, 0                                      // 000000002CB4: 7F220280
	v_mov_b32_e32 v66, 0                                       // 000000002CB8: 7E840280
	v_mov_b32_e32 v146, 0                                      // 000000002CBC: 7F240280
	v_mov_b32_e32 v67, 0                                       // 000000002CC0: 7E860280
	v_mov_b32_e32 v147, 0                                      // 000000002CC4: 7F260280
	v_mov_b32_e32 v68, 0                                       // 000000002CC8: 7E880280
	v_mov_b32_e32 v148, 0                                      // 000000002CCC: 7F280280
	v_mov_b32_e32 v69, 0                                       // 000000002CD0: 7E8A0280
	v_mov_b32_e32 v149, 0                                      // 000000002CD4: 7F2A0280
	v_mov_b32_e32 v70, 0                                       // 000000002CD8: 7E8C0280
	v_mov_b32_e32 v150, 0                                      // 000000002CDC: 7F2C0280
	v_mov_b32_e32 v71, 0                                       // 000000002CE0: 7E8E0280
	v_mov_b32_e32 v151, 0                                      // 000000002CE4: 7F2E0280
	v_mov_b32_e32 v72, 0                                       // 000000002CE8: 7E900280
	v_mov_b32_e32 v152, 0                                      // 000000002CEC: 7F300280
	v_mov_b32_e32 v73, 0                                       // 000000002CF0: 7E920280
	v_mov_b32_e32 v153, 0                                      // 000000002CF4: 7F320280
	v_mov_b32_e32 v74, 0                                       // 000000002CF8: 7E940280
	v_mov_b32_e32 v154, 0                                      // 000000002CFC: 7F340280
	v_mov_b32_e32 v75, 0                                       // 000000002D00: 7E960280
	v_mov_b32_e32 v155, 0                                      // 000000002D04: 7F360280
	v_mov_b32_e32 v76, 0                                       // 000000002D08: 7E980280
	v_mov_b32_e32 v156, 0                                      // 000000002D0C: 7F380280
	v_mov_b32_e32 v77, 0                                       // 000000002D10: 7E9A0280
	v_mov_b32_e32 v157, 0                                      // 000000002D14: 7F3A0280
	v_mov_b32_e32 v78, 0                                       // 000000002D18: 7E9C0280
	v_mov_b32_e32 v158, 0                                      // 000000002D1C: 7F3C0280
	v_mov_b32_e32 v79, 0                                       // 000000002D20: 7E9E0280
	v_mov_b32_e32 v159, 0                                      // 000000002D24: 7F3E0280
	v_mov_b32_e32 v80, 0                                       // 000000002D28: 7EA00280
	v_mov_b32_e32 v160, 0                                      // 000000002D2C: 7F400280
	v_mov_b32_e32 v81, 0                                       // 000000002D30: 7EA20280
	v_mov_b32_e32 v161, 0                                      // 000000002D34: 7F420280
	v_mov_b32_e32 v82, 0                                       // 000000002D38: 7EA40280
	v_mov_b32_e32 v162, 0                                      // 000000002D3C: 7F440280
	v_mov_b32_e32 v83, 0                                       // 000000002D40: 7EA60280
	v_mov_b32_e32 v163, 0                                      // 000000002D44: 7F460280
	v_mov_b32_e32 v84, 0                                       // 000000002D48: 7EA80280
	v_mov_b32_e32 v164, 0                                      // 000000002D4C: 7F480280
	v_mov_b32_e32 v85, 0                                       // 000000002D50: 7EAA0280
	v_mov_b32_e32 v165, 0                                      // 000000002D54: 7F4A0280
	v_mov_b32_e32 v86, 0                                       // 000000002D58: 7EAC0280
	v_mov_b32_e32 v166, 0                                      // 000000002D5C: 7F4C0280
	v_mov_b32_e32 v87, 0                                       // 000000002D60: 7EAE0280
	v_mov_b32_e32 v167, 0                                      // 000000002D64: 7F4E0280
	v_mov_b32_e32 v88, 0                                       // 000000002D68: 7EB00280
	v_mov_b32_e32 v168, 0                                      // 000000002D6C: 7F500280
	v_mov_b32_e32 v89, 0                                       // 000000002D70: 7EB20280
	v_mov_b32_e32 v169, 0                                      // 000000002D74: 7F520280
	v_mov_b32_e32 v90, 0                                       // 000000002D78: 7EB40280
	v_mov_b32_e32 v170, 0                                      // 000000002D7C: 7F540280
	v_mov_b32_e32 v91, 0                                       // 000000002D80: 7EB60280
	v_mov_b32_e32 v171, 0                                      // 000000002D84: 7F560280
	v_mov_b32_e32 v92, 0                                       // 000000002D88: 7EB80280
	v_mov_b32_e32 v172, 0                                      // 000000002D8C: 7F580280
	v_mov_b32_e32 v93, 0                                       // 000000002D90: 7EBA0280
	v_mov_b32_e32 v173, 0                                      // 000000002D94: 7F5A0280
	v_mov_b32_e32 v94, 0                                       // 000000002D98: 7EBC0280
	v_mov_b32_e32 v174, 0                                      // 000000002D9C: 7F5C0280
	v_mov_b32_e32 v95, 0                                       // 000000002DA0: 7EBE0280
	v_mov_b32_e32 v175, 0                                      // 000000002DA4: 7F5E0280
	v_mov_b32_e32 v96, 0                                       // 000000002DA8: 7EC00280
	v_mov_b32_e32 v176, 0                                      // 000000002DAC: 7F600280
	v_mov_b32_e32 v97, 0                                       // 000000002DB0: 7EC20280
	v_mov_b32_e32 v177, 0                                      // 000000002DB4: 7F620280
	v_mov_b32_e32 v98, 0                                       // 000000002DB8: 7EC40280
	v_mov_b32_e32 v178, 0                                      // 000000002DBC: 7F640280
	v_mov_b32_e32 v99, 0                                       // 000000002DC0: 7EC60280
	v_mov_b32_e32 v179, 0                                      // 000000002DC4: 7F660280
	v_mov_b32_e32 v100, 0                                      // 000000002DC8: 7EC80280
	v_mov_b32_e32 v180, 0                                      // 000000002DCC: 7F680280
	v_mov_b32_e32 v101, 0                                      // 000000002DD0: 7ECA0280
	v_mov_b32_e32 v181, 0                                      // 000000002DD4: 7F6A0280
	v_mov_b32_e32 v102, 0                                      // 000000002DD8: 7ECC0280
	v_mov_b32_e32 v182, 0                                      // 000000002DDC: 7F6C0280
	v_mov_b32_e32 v103, 0                                      // 000000002DE0: 7ECE0280
	v_mov_b32_e32 v183, 0                                      // 000000002DE4: 7F6E0280
	v_mov_b32_e32 v104, 0                                      // 000000002DE8: 7ED00280
	v_mov_b32_e32 v184, 0                                      // 000000002DEC: 7F700280
	v_mov_b32_e32 v105, 0                                      // 000000002DF0: 7ED20280
	v_mov_b32_e32 v185, 0                                      // 000000002DF4: 7F720280
	v_mov_b32_e32 v106, 0                                      // 000000002DF8: 7ED40280
	v_mov_b32_e32 v186, 0                                      // 000000002DFC: 7F740280
	v_mov_b32_e32 v107, 0                                      // 000000002E00: 7ED60280
	v_mov_b32_e32 v187, 0                                      // 000000002E04: 7F760280
	v_mov_b32_e32 v108, 0                                      // 000000002E08: 7ED80280
	v_mov_b32_e32 v188, 0                                      // 000000002E0C: 7F780280
	v_mov_b32_e32 v109, 0                                      // 000000002E10: 7EDA0280
	v_mov_b32_e32 v189, 0                                      // 000000002E14: 7F7A0280
	v_mov_b32_e32 v110, 0                                      // 000000002E18: 7EDC0280
	v_mov_b32_e32 v190, 0                                      // 000000002E1C: 7F7C0280
	v_mov_b32_e32 v111, 0                                      // 000000002E20: 7EDE0280
	v_mov_b32_e32 v191, 0                                      // 000000002E24: 7F7E0280
	v_mov_b32_e32 v112, 0                                      // 000000002E28: 7EE00280
	v_mov_b32_e32 v192, 0                                      // 000000002E2C: 7F800280
	v_mov_b32_e32 v113, 0                                      // 000000002E30: 7EE20280
	v_mov_b32_e32 v193, 0                                      // 000000002E34: 7F820280
	v_mov_b32_e32 v114, 0                                      // 000000002E38: 7EE40280
	v_mov_b32_e32 v194, 0                                      // 000000002E3C: 7F840280
	v_mov_b32_e32 v115, 0                                      // 000000002E40: 7EE60280
	v_mov_b32_e32 v195, 0                                      // 000000002E44: 7F860280
	v_mov_b32_e32 v116, 0                                      // 000000002E48: 7EE80280
	v_mov_b32_e32 v196, 0                                      // 000000002E4C: 7F880280
	v_mov_b32_e32 v117, 0                                      // 000000002E50: 7EEA0280
	v_mov_b32_e32 v197, 0                                      // 000000002E54: 7F8A0280
	v_mov_b32_e32 v118, 0                                      // 000000002E58: 7EEC0280
	v_mov_b32_e32 v198, 0                                      // 000000002E5C: 7F8C0280
	v_mov_b32_e32 v119, 0                                      // 000000002E60: 7EEE0280
	v_mov_b32_e32 v199, 0                                      // 000000002E64: 7F8E0280
	v_mov_b32_e32 v120, 0                                      // 000000002E68: 7EF00280
	v_mov_b32_e32 v200, 0                                      // 000000002E6C: 7F900280
	v_mov_b32_e32 v121, 0                                      // 000000002E70: 7EF20280
	v_mov_b32_e32 v201, 0                                      // 000000002E74: 7F920280
	v_mov_b32_e32 v122, 0                                      // 000000002E78: 7EF40280
	v_mov_b32_e32 v202, 0                                      // 000000002E7C: 7F940280
	v_mov_b32_e32 v123, 0                                      // 000000002E80: 7EF60280
	v_mov_b32_e32 v203, 0                                      // 000000002E84: 7F960280
	v_mov_b32_e32 v124, 0                                      // 000000002E88: 7EF80280
	v_mov_b32_e32 v204, 0                                      // 000000002E8C: 7F980280
	v_mov_b32_e32 v125, 0                                      // 000000002E90: 7EFA0280
	v_mov_b32_e32 v205, 0                                      // 000000002E94: 7F9A0280
	v_mov_b32_e32 v126, 0                                      // 000000002E98: 7EFC0280
	v_mov_b32_e32 v206, 0                                      // 000000002E9C: 7F9C0280
	v_mov_b32_e32 v127, 0                                      // 000000002EA0: 7EFE0280
	v_mov_b32_e32 v207, 0                                      // 000000002EA4: 7F9E0280
	v_mov_b32_e32 v128, 0                                      // 000000002EA8: 7F000280
	v_mov_b32_e32 v208, 0                                      // 000000002EAC: 7FA00280
	v_mov_b32_e32 v129, 0                                      // 000000002EB0: 7F020280
	v_mov_b32_e32 v209, 0                                      // 000000002EB4: 7FA20280
	v_mov_b32_e32 v130, 0                                      // 000000002EB8: 7F040280
	v_mov_b32_e32 v210, 0                                      // 000000002EBC: 7FA40280
	v_mov_b32_e32 v131, 0                                      // 000000002EC0: 7F060280
	v_mov_b32_e32 v211, 0                                      // 000000002EC4: 7FA60280
	v_mov_b32_e32 v132, 0                                      // 000000002EC8: 7F080280
	v_mov_b32_e32 v212, 0                                      // 000000002ECC: 7FA80280
	v_mov_b32_e32 v133, 0                                      // 000000002ED0: 7F0A0280
	v_mov_b32_e32 v213, 0                                      // 000000002ED4: 7FAA0280
	v_mov_b32_e32 v134, 0                                      // 000000002ED8: 7F0C0280
	v_mov_b32_e32 v214, 0                                      // 000000002EDC: 7FAC0280
	v_mov_b32_e32 v135, 0                                      // 000000002EE0: 7F0E0280
	v_mov_b32_e32 v215, 0                                      // 000000002EE4: 7FAE0280
	v_mov_b32_e32 v136, 0                                      // 000000002EE8: 7F100280
	v_mov_b32_e32 v216, 0                                      // 000000002EEC: 7FB00280
	v_mov_b32_e32 v137, 0                                      // 000000002EF0: 7F120280
	v_mov_b32_e32 v217, 0                                      // 000000002EF4: 7FB20280
	v_mov_b32_e32 v138, 0                                      // 000000002EF8: 7F140280
	v_mov_b32_e32 v218, 0                                      // 000000002EFC: 7FB40280
	v_mov_b32_e32 v139, 0                                      // 000000002F00: 7F160280
	v_mov_b32_e32 v219, 0                                      // 000000002F04: 7FB60280
	v_mov_b32_e32 v140, 0                                      // 000000002F08: 7F180280
	v_mov_b32_e32 v220, 0                                      // 000000002F0C: 7FB80280
	v_mov_b32_e32 v141, 0                                      // 000000002F10: 7F1A0280
	v_mov_b32_e32 v221, 0                                      // 000000002F14: 7FBA0280
	v_mov_b32_e32 v142, 0                                      // 000000002F18: 7F1C0280
	v_mov_b32_e32 v222, 0                                      // 000000002F1C: 7FBC0280
	v_mov_b32_e32 v143, 0                                      // 000000002F20: 7F1E0280
	v_mov_b32_e32 v223, 0                                      // 000000002F24: 7FBE0280
	s_mul_i32 s60, s2, 0x200                                   // 000000002F28: 923CFF02 00000200
	s_cmp_eq_u32 s88, 0                                        // 000000002F30: BF068058
	s_cselect_b32 s61, 1, 2                                    // 000000002F34: 853D8281
	s_mul_i32 s60, s60, s61                                    // 000000002F38: 923C3D3C
	s_mov_b32 s90, s8                                          // 000000002F3C: BEDA0008
	s_mov_b32 s91, s9                                          // 000000002F40: BEDB0009
	s_add_u32 s8, s60, s8                                      // 000000002F44: 8008083C
	s_addc_u32 s9, 0, s9                                       // 000000002F48: 82090980
	v_lshrrev_b32_e32 v4, 4, v0                                // 000000002F4C: 20080084
	v_mul_lo_u32 v20, 34, v4                                   // 000000002F50: D2850014 000208A2
	v_and_b32_e32 v4, 15, v0                                   // 000000002F58: 2608008F
	v_mul_lo_u32 v5, 2, v4                                     // 000000002F5C: D2850005 00020882
	v_add_u32_e32 v20, v5, v20                                 // 000000002F64: 68282905
	s_mul_i32 s60, s7, 0x88                                    // 000000002F68: 923CFF07 00000088
	v_add_u32_e32 v20, s60, v20                                // 000000002F70: 6828283C
	v_lshlrev_b32_e32 v20, 2, v20                              // 000000002F74: 24282882
	v_and_b32_e32 v4, 31, v0                                   // 000000002F78: 2608009F
	v_lshrrev_b32_e32 v4, 1, v4                                // 000000002F7C: 20080881
	v_mul_lo_u32 v21, 34, v4                                   // 000000002F80: D2850015 000208A2
	v_lshrrev_b32_e32 v4, 5, v0                                // 000000002F88: 20080085
	v_mul_lo_u32 v4, 8, v4                                     // 000000002F8C: D2850004 00020888
	v_add_u32_e32 v21, v21, v4                                 // 000000002F94: 682A0915
	v_and_b32_e32 v5, 1, v0                                    // 000000002F98: 260A0081
	v_add_u32_e32 v21, v5, v21                                 // 000000002F9C: 682A2B05
	s_mul_i32 s60, s7, 2                                       // 000000002FA0: 923C8207
	v_add_u32_e32 v21, s60, v21                                // 000000002FA4: 682A2A3C
	v_lshlrev_b32_e32 v21, 2, v21                              // 000000002FA8: 242A2A82
	s_mul_i32 s60, s7, 0xa20                                   // 000000002FAC: 923CFF07 00000A20
	s_add_u32 s48, 0, s60                                      // 000000002FB4: 80303C80
	s_add_u32 s49, 0x2880, s48                                 // 000000002FB8: 803130FF 00002880
	s_add_u32 s50, 0x2880, s49                                 // 000000002FC0: 803231FF 00002880
	v_lshrrev_b32_e32 v4, 4, v0                                // 000000002FC8: 20080084
	v_lshlrev_b32_e32 v5, 2, v4                                // 000000002FCC: 240A0882
	v_and_b32_e32 v4, 15, v0                                   // 000000002FD0: 2608008F
	v_lshrrev_b32_e32 v6, 2, v4                                // 000000002FD4: 200C0882
	v_lshlrev_b32_e32 v6, 5, v6                                // 000000002FD8: 240C0C85
	v_add_u32_e32 v5, v6, v5                                   // 000000002FDC: 680A0B06
	v_and_b32_e32 v4, 3, v0                                    // 000000002FE0: 26080083
	v_mul_u32_u24_e32 v6, 0x288, v4                            // 000000002FE4: 100C08FF 00000288
	v_add_u32_e32 v5, v6, v5                                   // 000000002FEC: 680A0B06
	v_lshlrev_b32_e32 v2, 2, v5                                // 000000002FF0: 24040A82
	s_waitcnt lgkmcnt(0)                                       // 000000002FF4: BF8CC07F
	s_mul_i32 s60, s2, 0x100                                   // 000000002FF8: 923CFF02 00000100
	s_mul_i32 s60, s60, s69                                    // 000000003000: 923C453C
	s_mul_i32 s61, s5, s72                                     // 000000003004: 923D4805
	s_add_u32 s60, s61, s60                                    // 000000003008: 803C3C3D
	s_add_u32 s24, s60, s24                                    // 00000000300C: 8018183C
	s_addc_u32 s25, 0, s25                                     // 000000003010: 82191980
	s_lshr_b32 s60, s64, s88                                   // 000000003014: 8F3C5840
	s_mul_i32 s60, s4, s60                                     // 000000003018: 923C3C04
	s_lshr_b32 s60, s60, 7                                     // 00000000301C: 8F3C873C
	s_mul_i32 s60, s60, 0x800                                  // 000000003020: 923CFF3C 00000800
	s_add_u32 s24, s60, s24                                    // 000000003028: 8018183C
	s_addc_u32 s25, 0, s25                                     // 00000000302C: 82191980
	s_lshr_b32 s60, s69, s88                                   // 000000003030: 8F3C5845
	s_mul_i32 s60, s4, s60                                     // 000000003034: 923C3C04
	s_add_u32 s20, s60, s20                                    // 000000003038: 8014143C
	s_addc_u32 s21, 0, s21                                     // 00000000303C: 82151580
	s_mul_i32 s60, s7, 16                                      // 000000003040: 923C9007
	s_mul_i32 s60, s60, s69                                    // 000000003044: 923C453C
	v_lshlrev_b32_e32 v60, 4, v0                               // 000000003048: 24780084
	v_add_u32_e32 v60, s60, v60                                // 00000000304C: 6878783C
	s_mul_i32 s60, 64, s69                                     // 000000003050: 923C45C0
	v_add_u32_e32 v61, s60, v60                                // 000000003054: 687A783C
	v_add_u32_e32 v62, s60, v61                                // 000000003058: 687C7A3C
	v_add_u32_e32 v63, s60, v62                                // 00000000305C: 687E7C3C
	s_mov_b32 s84, s24                                         // 000000003060: BED40018
	s_mov_b32 s85, s25                                         // 000000003064: BED50019
	s_mov_b32 s86, s26                                         // 000000003068: BED6001A
	s_mov_b32 s87, s27                                         // 00000000306C: BED7001B
	s_mul_i32 s60, s69, s65                                    // 000000003070: 923C4145
	s_add_u32 s84, s60, s84                                    // 000000003074: 8054543C
	s_addc_u32 s85, 0, s85                                     // 000000003078: 82555580
	v_lshrrev_b32_e32 v4, 4, v0                                // 00000000307C: 20080084
	v_lshlrev_b32_e32 v5, 2, v4                                // 000000003080: 240A0882
	v_and_b32_e32 v4, 15, v0                                   // 000000003084: 2608008F
	v_lshrrev_b32_e32 v6, 2, v4                                // 000000003088: 200C0882
	v_lshlrev_b32_e32 v6, 6, v6                                // 00000000308C: 240C0C86
	v_add_u32_e32 v5, v6, v5                                   // 000000003090: 680A0B06
	v_and_b32_e32 v4, 3, v0                                    // 000000003094: 26080083
	v_add_u32_e32 v5, v4, v5                                   // 000000003098: 680A0B04
	v_lshlrev_b32_e32 v22, 2, v5                               // 00000000309C: 242C0A82
	s_mul_i32 s60, s7, 16                                      // 0000000030A0: 923C9007
	s_mul_i32 s60, s60, 4                                      // 0000000030A4: 923C843C
	v_add_u32_e32 v22, s60, v22                                // 0000000030A8: 682C2C3C
	s_mul_i32 s60, s2, 0x100                                   // 0000000030AC: 923CFF02 00000100
	s_mul_i32 s60, s60, 4                                      // 0000000030B4: 923C843C
	s_mul_i32 s61, s5, s74                                     // 0000000030B8: 923D4A05
	s_add_u32 s61, s61, s60                                    // 0000000030BC: 803D3C3D
	s_add_u32 s32, s61, s32                                    // 0000000030C0: 8020203D
	s_addc_u32 s33, 0, s33                                     // 0000000030C4: 82212180
	s_mov_b32 s57, 0x80                                        // 0000000030C8: BEB900FF 00000080
	s_mov_b32 s58, 0x800                                       // 0000000030D0: BEBA00FF 00000800
	s_mov_b32 s83, s58                                         // 0000000030D8: BED3003A
	s_mov_b32 s52, 0x7060302                                   // 0000000030DC: BEB400FF 07060302
	s_mov_b32 s53, 0x400                                       // 0000000030E4: BEB500FF 00000400
	s_mov_b32 s54, 0x40100                                     // 0000000030EC: BEB600FF 00040100
	s_mov_b32 s55, 0x4020100                                   // 0000000030F4: BEB700FF 04020100
	s_mov_b32 s6, 0x3fb8aa3b                                   // 0000000030FC: BE8600FF 3FB8AA3B
	s_mov_b32 s78, 0xbd92220c                                  // 000000003104: BECE00FF BD92220C
	s_mov_b32 s79, 0xbd92220c                                  // 00000000310C: BECF00FF BD92220C
	s_mov_b32 m0, s48                                          // 000000003114: BEFC0030
	v_mov_b32_e32 v1, 0xbfcc4231                               // 000000003118: 7E0202FF BFCC4231
	v_mov_b32_e32 v17, 0xffff0000                              // 000000003120: 7E2202FF FFFF0000
	v_mov_b32_e32 v18, 0x7fff0000                              // 000000003128: 7E2402FF 7FFF0000
	v_mov_b32_e32 v19, 0x7fff                                  // 000000003130: 7E2602FF 00007FFF
	s_waitcnt vmcnt(0) expcnt(0) lgkmcnt(0)                    // 000000003138: BF8C0000
	s_mul_i32 s60, s3, 0x50                                    // 00000000313C: 923CFF03 00000050
	s_mul_i32 s60, 4, s60                                      // 000000003144: 923C3C84
	s_add_u32 s40, s60, s40                                    // 000000003148: 8028283C
	s_addc_u32 s41, 0, s41                                     // 00000000314C: 82292980
	v_and_b32_e32 v4, 15, v0                                   // 000000003150: 2608008F
	v_lshlrev_b32_e32 v4, 2, v4                                // 000000003154: 24080882
	buffer_load_dword v224, v4, s[40:43], 0 offen              // 000000003158: E0501000 800AE004
	buffer_load_dword v225, v4, s[40:43], 0 offen offset:64    // 000000003160: E0501040 800AE104
	buffer_load_dword v226, v4, s[40:43], 0 offen offset:128   // 000000003168: E0501080 800AE204
	buffer_load_dword v227, v4, s[40:43], 0 offen offset:192   // 000000003170: E05010C0 800AE304
	buffer_load_dword v228, v4, s[40:43], 0 offen offset:256   // 000000003178: E0501100 800AE404
	v_lshrrev_b32_e32 v4, 5, v0                                // 000000003180: 20080085
	v_xor_b32_e32 v5, 1, v4                                    // 000000003184: 2A0A0881
	v_readlane_b32 s82, v3, 0                                  // 000000003188: D2890052 00010103
	s_and_b32 s82, s82, 0xffffff                               // 000000003190: 8652FF52 00FFFFFF
	v_mul_lo_u32 v6, v5, s82                                   // 000000003198: D2850006 0000A505
	v_readlane_b32 s82, v3, 1                                  // 0000000031A0: D2890052 00010303
	s_and_b32 s82, s82, 0xffffff                               // 0000000031A8: 8652FF52 00FFFFFF
	v_mul_lo_u32 v7, v4, s82                                   // 0000000031B0: D2850007 0000A504
	v_add_u32_e32 v50, v6, v7                                  // 0000000031B8: 68640F06
	v_mul_lo_u32 v50, v50, s68                                 // 0000000031BC: D2850032 00008932
	v_readlane_b32 s82, v3, 2                                  // 0000000031C4: D2890052 00010503
	s_and_b32 s82, s82, 0xffffff                               // 0000000031CC: 8652FF52 00FFFFFF
	v_mul_lo_u32 v6, v5, s82                                   // 0000000031D4: D2850006 0000A505
	v_readlane_b32 s82, v3, 3                                  // 0000000031DC: D2890052 00010703
	s_and_b32 s82, s82, 0xffffff                               // 0000000031E4: 8652FF52 00FFFFFF
	v_mul_lo_u32 v7, v4, s82                                   // 0000000031EC: D2850007 0000A504
	v_add_u32_e32 v51, v6, v7                                  // 0000000031F4: 68660F06
	v_mul_lo_u32 v51, v51, s68                                 // 0000000031F8: D2850033 00008933
	v_readlane_b32 s82, v3, 4                                  // 000000003200: D2890052 00010903
	s_and_b32 s82, s82, 0xffffff                               // 000000003208: 8652FF52 00FFFFFF
	v_mul_lo_u32 v6, v5, s82                                   // 000000003210: D2850006 0000A505
	v_readlane_b32 s82, v3, 5                                  // 000000003218: D2890052 00010B03
	s_and_b32 s82, s82, 0xffffff                               // 000000003220: 8652FF52 00FFFFFF
	v_mul_lo_u32 v7, v4, s82                                   // 000000003228: D2850007 0000A504
	v_add_u32_e32 v52, v6, v7                                  // 000000003230: 68680F06
	v_mul_lo_u32 v52, v52, s68                                 // 000000003234: D2850034 00008934
	v_readlane_b32 s82, v3, 6                                  // 00000000323C: D2890052 00010D03
	s_and_b32 s82, s82, 0xffffff                               // 000000003244: 8652FF52 00FFFFFF
	v_mul_lo_u32 v6, v5, s82                                   // 00000000324C: D2850006 0000A505
	v_readlane_b32 s82, v3, 7                                  // 000000003254: D2890052 00010F03
	s_and_b32 s82, s82, 0xffffff                               // 00000000325C: 8652FF52 00FFFFFF
	v_mul_lo_u32 v7, v4, s82                                   // 000000003264: D2850007 0000A504
	v_add_u32_e32 v53, v6, v7                                  // 00000000326C: 686A0F06
	v_mul_lo_u32 v53, v53, s68                                 // 000000003270: D2850035 00008935
	v_readlane_b32 s82, v3, 8                                  // 000000003278: D2890052 00011103
	s_and_b32 s82, s82, 0xffffff                               // 000000003280: 8652FF52 00FFFFFF
	v_mul_lo_u32 v6, v5, s82                                   // 000000003288: D2850006 0000A505
	v_readlane_b32 s82, v3, 9                                  // 000000003290: D2890052 00011303
	s_and_b32 s82, s82, 0xffffff                               // 000000003298: 8652FF52 00FFFFFF
	v_mul_lo_u32 v7, v4, s82                                   // 0000000032A0: D2850007 0000A504
	v_add_u32_e32 v54, v6, v7                                  // 0000000032A8: 686C0F06
	v_mul_lo_u32 v54, v54, s68                                 // 0000000032AC: D2850036 00008936
	v_readlane_b32 s82, v3, 10                                 // 0000000032B4: D2890052 00011503
	s_and_b32 s82, s82, 0xffffff                               // 0000000032BC: 8652FF52 00FFFFFF
	v_mul_lo_u32 v6, v5, s82                                   // 0000000032C4: D2850006 0000A505
	v_readlane_b32 s82, v3, 11                                 // 0000000032CC: D2890052 00011703
	s_and_b32 s82, s82, 0xffffff                               // 0000000032D4: 8652FF52 00FFFFFF
	v_mul_lo_u32 v7, v4, s82                                   // 0000000032DC: D2850007 0000A504
	v_add_u32_e32 v55, v6, v7                                  // 0000000032E4: 686E0F06
	v_mul_lo_u32 v55, v55, s68                                 // 0000000032E8: D2850037 00008937
	v_readlane_b32 s82, v3, 12                                 // 0000000032F0: D2890052 00011903
	s_and_b32 s82, s82, 0xffffff                               // 0000000032F8: 8652FF52 00FFFFFF
	v_mul_lo_u32 v6, v5, s82                                   // 000000003300: D2850006 0000A505
	v_readlane_b32 s82, v3, 13                                 // 000000003308: D2890052 00011B03
	s_and_b32 s82, s82, 0xffffff                               // 000000003310: 8652FF52 00FFFFFF
	v_mul_lo_u32 v7, v4, s82                                   // 000000003318: D2850007 0000A504
	v_add_u32_e32 v56, v6, v7                                  // 000000003320: 68700F06
	v_mul_lo_u32 v56, v56, s68                                 // 000000003324: D2850038 00008938
	v_readlane_b32 s82, v3, 14                                 // 00000000332C: D2890052 00011D03
	s_and_b32 s82, s82, 0xffffff                               // 000000003334: 8652FF52 00FFFFFF
	v_mul_lo_u32 v6, v5, s82                                   // 00000000333C: D2850006 0000A505
	v_readlane_b32 s82, v3, 15                                 // 000000003344: D2890052 00011F03
	s_and_b32 s82, s82, 0xffffff                               // 00000000334C: 8652FF52 00FFFFFF
	v_mul_lo_u32 v7, v4, s82                                   // 000000003354: D2850007 0000A504
	v_add_u32_e32 v57, v6, v7                                  // 00000000335C: 68720F06
	v_mul_lo_u32 v57, v57, s68                                 // 000000003360: D2850039 00008939
	v_readlane_b32 s82, v3, 16                                 // 000000003368: D2890052 00012103
	s_and_b32 s82, s82, 0xffffff                               // 000000003370: 8652FF52 00FFFFFF
	v_mul_lo_u32 v6, v5, s82                                   // 000000003378: D2850006 0000A505
	v_readlane_b32 s82, v3, 17                                 // 000000003380: D2890052 00012303
	s_and_b32 s82, s82, 0xffffff                               // 000000003388: 8652FF52 00FFFFFF
	v_mul_lo_u32 v7, v4, s82                                   // 000000003390: D2850007 0000A504
	v_add_u32_e32 v58, v6, v7                                  // 000000003398: 68740F06
	v_mul_lo_u32 v58, v58, s68                                 // 00000000339C: D285003A 0000893A
	v_readlane_b32 s82, v3, 18                                 // 0000000033A4: D2890052 00012503
	s_and_b32 s82, s82, 0xffffff                               // 0000000033AC: 8652FF52 00FFFFFF
	v_mul_lo_u32 v6, v5, s82                                   // 0000000033B4: D2850006 0000A505
	v_readlane_b32 s82, v3, 19                                 // 0000000033BC: D2890052 00012703
	s_and_b32 s82, s82, 0xffffff                               // 0000000033C4: 8652FF52 00FFFFFF
	v_mul_lo_u32 v7, v4, s82                                   // 0000000033CC: D2850007 0000A504
	v_add_u32_e32 v59, v6, v7                                  // 0000000033D4: 68760F06
	v_mul_lo_u32 v59, v59, s68                                 // 0000000033D8: D285003B 0000893B
	v_and_b32_e32 v4, 31, v0                                   // 0000000033E0: 2608009F
	v_lshlrev_b32_e32 v4, 2, v4                                // 0000000033E4: 24080882
	v_add_u32_e32 v50, v50, v4                                 // 0000000033E8: 68640932
	v_add_u32_e32 v51, v51, v4                                 // 0000000033EC: 68660933
	v_add_u32_e32 v52, v52, v4                                 // 0000000033F0: 68680934
	v_add_u32_e32 v53, v53, v4                                 // 0000000033F4: 686A0935
	v_add_u32_e32 v54, v54, v4                                 // 0000000033F8: 686C0936
	v_add_u32_e32 v55, v55, v4                                 // 0000000033FC: 686E0937
	v_add_u32_e32 v56, v56, v4                                 // 000000003400: 68700938
	v_add_u32_e32 v57, v57, v4                                 // 000000003404: 68720939
	v_add_u32_e32 v58, v58, v4                                 // 000000003408: 6874093A
	v_add_u32_e32 v59, v59, v4                                 // 00000000340C: 6876093B
	v_and_b32_e32 v30, 0xffffff, v30                           // 000000003410: 263C3CFF 00FFFFFF
	v_lshlrev_b32_e32 v30, 2, v30                              // 000000003418: 243C3C82
	v_and_b32_e32 v31, 0xffffff, v31                           // 00000000341C: 263E3EFF 00FFFFFF
	v_lshlrev_b32_e32 v31, 2, v31                              // 000000003424: 243E3E82
	v_and_b32_e32 v32, 0xffffff, v32                           // 000000003428: 264040FF 00FFFFFF
	v_lshlrev_b32_e32 v32, 2, v32                              // 000000003430: 24404082
	v_and_b32_e32 v33, 0xffffff, v33                           // 000000003434: 264242FF 00FFFFFF
	v_lshlrev_b32_e32 v33, 2, v33                              // 00000000343C: 24424282
	v_and_b32_e32 v34, 0xffffff, v34                           // 000000003440: 264444FF 00FFFFFF
	v_lshlrev_b32_e32 v34, 2, v34                              // 000000003448: 24444482
	s_lshl_b32 s3, s66, 2                                      // 00000000344C: 8E038242
	buffer_load_dword v35, v30, s[28:31], 0 offen              // 000000003450: E0501000 8007231E
	buffer_load_dword v36, v31, s[28:31], 0 offen              // 000000003458: E0501000 8007241F
	buffer_load_dword v37, v32, s[28:31], 0 offen              // 000000003460: E0501000 80072520
	buffer_load_dword v38, v33, s[28:31], 0 offen              // 000000003468: E0501000 80072621
	;; [unrolled: 1-line block ×4, first 2 shown]
	s_mul_i32 s60, 4, s65                                      // 000000003480: 923C4184
	s_add_u32 s32, s60, s32                                    // 000000003484: 8020203C
	s_addc_u32 s33, 0, s33                                     // 000000003488: 82212180
	buffer_load_dword v27, v22, s[32:35], 0 offen              // 00000000348C: E0501000 80081B16
	buffer_load_dword v50, s[20:23], 0 offen lds               // 000000003494: E0511000 80050032
	s_add_u32 m0, 0x100, s48                                   // 00000000349C: 807C30FF 00000100
	buffer_load_dword v51, s[20:23], 0 offen lds               // 0000000034A4: E0511000 80050033
	s_add_u32 m0, 0x200, s48                                   // 0000000034AC: 807C30FF 00000200
	buffer_load_dword v52, s[20:23], 0 offen lds               // 0000000034B4: E0511000 80050034
	s_add_u32 m0, 0x300, s48                                   // 0000000034BC: 807C30FF 00000300
	buffer_load_dword v53, s[20:23], 0 offen lds               // 0000000034C4: E0511000 80050035
	s_add_u32 m0, 0x400, s48                                   // 0000000034CC: 807C30FF 00000400
	buffer_load_dword v54, s[20:23], 0 offen lds               // 0000000034D4: E0511000 80050036
	s_add_u32 m0, 0x500, s48                                   // 0000000034DC: 807C30FF 00000500
	buffer_load_dword v55, s[20:23], 0 offen lds               // 0000000034E4: E0511000 80050037
	s_add_u32 m0, 0x600, s48                                   // 0000000034EC: 807C30FF 00000600
	buffer_load_dword v56, s[20:23], 0 offen lds               // 0000000034F4: E0511000 80050038
	s_add_u32 m0, 0x700, s48                                   // 0000000034FC: 807C30FF 00000700
	buffer_load_dword v57, s[20:23], 0 offen lds               // 000000003504: E0511000 80050039
	s_add_u32 m0, 0x800, s48                                   // 00000000350C: 807C30FF 00000800
	buffer_load_dword v58, s[20:23], 0 offen lds               // 000000003514: E0511000 8005003A
	s_add_u32 m0, 0x900, s48                                   // 00000000351C: 807C30FF 00000900
	buffer_load_dword v59, s[20:23], 0 offen lds               // 000000003524: E0511000 8005003B
	s_add_u32 m0, 0, s49                                       // 00000000352C: 807C3180
	s_add_u32 s20, s57, s20                                    // 000000003530: 80141439
	s_addc_u32 s21, 0, s21                                     // 000000003534: 82151580
	buffer_load_dwordx4 a[80:83], v60, s[24:27], 0 offen       // 000000003538: E05C1000 8086503C
	buffer_load_dwordx4 a[84:87], v60, s[24:27], 0 offen offset:1024// 000000003540: E05C1400 8086543C
	buffer_load_dwordx4 a[88:91], v61, s[24:27], 0 offen       // 000000003548: E05C1000 8086583D
	buffer_load_dwordx4 a[92:95], v61, s[24:27], 0 offen offset:1024// 000000003550: E05C1400 80865C3D
	buffer_load_dwordx4 a[96:99], v62, s[24:27], 0 offen       // 000000003558: E05C1000 8086603E
	buffer_load_dwordx4 a[100:103], v62, s[24:27], 0 offen offset:1024// 000000003560: E05C1400 8086643E
	buffer_load_dwordx4 a[104:107], v63, s[24:27], 0 offen     // 000000003568: E05C1000 8086683F
	buffer_load_dwordx4 a[108:111], v63, s[24:27], 0 offen offset:1024// 000000003570: E05C1400 80866C3F
	s_add_u32 s24, s58, s24                                    // 000000003578: 8018183A
	s_addc_u32 s25, 0, s25                                     // 00000000357C: 82191980
	buffer_load_dword v50, s[20:23], 0 offen lds               // 000000003580: E0511000 80050032
	s_add_u32 m0, 0x100, s49                                   // 000000003588: 807C31FF 00000100
	buffer_load_dword v51, s[20:23], 0 offen lds               // 000000003590: E0511000 80050033
	s_add_u32 m0, 0x200, s49                                   // 000000003598: 807C31FF 00000200
	buffer_load_dword v52, s[20:23], 0 offen lds               // 0000000035A0: E0511000 80050034
	s_add_u32 m0, 0x300, s49                                   // 0000000035A8: 807C31FF 00000300
	buffer_load_dword v53, s[20:23], 0 offen lds               // 0000000035B0: E0511000 80050035
	s_add_u32 m0, 0x400, s49                                   // 0000000035B8: 807C31FF 00000400
	buffer_load_dword v54, s[20:23], 0 offen lds               // 0000000035C0: E0511000 80050036
	s_add_u32 m0, 0x500, s49                                   // 0000000035C8: 807C31FF 00000500
	buffer_load_dword v55, s[20:23], 0 offen lds               // 0000000035D0: E0511000 80050037
	s_add_u32 m0, 0x600, s49                                   // 0000000035D8: 807C31FF 00000600
	buffer_load_dword v56, s[20:23], 0 offen lds               // 0000000035E0: E0511000 80050038
	s_add_u32 m0, 0x700, s49                                   // 0000000035E8: 807C31FF 00000700
	buffer_load_dword v57, s[20:23], 0 offen lds               // 0000000035F0: E0511000 80050039
	s_add_u32 m0, 0x800, s49                                   // 0000000035F8: 807C31FF 00000800
	buffer_load_dword v58, s[20:23], 0 offen lds               // 000000003600: E0511000 8005003A
	s_add_u32 m0, 0x900, s49                                   // 000000003608: 807C31FF 00000900
	buffer_load_dword v59, s[20:23], 0 offen lds               // 000000003610: E0511000 8005003B
	s_add_u32 m0, 0, s50                                       // 000000003618: 807C3280
	s_add_u32 s20, s57, s20                                    // 00000000361C: 80141439
	s_addc_u32 s21, 0, s21                                     // 000000003620: 82151580
	buffer_load_dwordx4 a[112:115], v60, s[84:87], 0 offen     // 000000003624: E05C1000 8095703C
	buffer_load_dwordx4 a[116:119], v60, s[84:87], 0 offen offset:1024// 00000000362C: E05C1400 8095743C
	buffer_load_dwordx4 a[120:123], v61, s[84:87], 0 offen     // 000000003634: E05C1000 8095783D
	buffer_load_dwordx4 a[124:127], v61, s[84:87], 0 offen offset:1024// 00000000363C: E05C1400 80957C3D
	buffer_load_dwordx4 a[128:131], v62, s[84:87], 0 offen     // 000000003644: E05C1000 8095803E
	buffer_load_dwordx4 a[132:135], v62, s[84:87], 0 offen offset:1024// 00000000364C: E05C1400 8095843E
	buffer_load_dwordx4 a[136:139], v63, s[84:87], 0 offen     // 000000003654: E05C1000 8095883F
	buffer_load_dwordx4 a[140:143], v63, s[84:87], 0 offen offset:1024// 00000000365C: E05C1400 80958C3F
	s_add_u32 s84, s83, s84                                    // 000000003664: 80545453
	s_addc_u32 s85, 0, s85                                     // 000000003668: 82555580
	s_waitcnt vmcnt(26)                                        // 00000000366C: BF8C4F7A
	s_barrier                                                  // 000000003670: BF8A0000
	ds_read_b128 a[0:3], v2                                    // 000000003674: DBFE0000 00000002
	ds_read_b128 a[4:7], v2 offset:64                          // 00000000367C: DBFE0040 04000002
	ds_read_b128 a[8:11], v2 offset:512                        // 000000003684: DBFE0200 08000002
	ds_read_b128 a[12:15], v2 offset:576                       // 00000000368C: DBFE0240 0C000002
	ds_read_b128 a[16:19], v2 offset:1024                      // 000000003694: DBFE0400 10000002
	ds_read_b128 a[20:23], v2 offset:1088                      // 00000000369C: DBFE0440 14000002
	ds_read_b128 a[24:27], v2 offset:1536                      // 0000000036A4: DBFE0600 18000002
	ds_read_b128 a[28:31], v2 offset:1600                      // 0000000036AC: DBFE0640 1C000002
	ds_read_b128 a[32:35], v2 offset:2048                      // 0000000036B4: DBFE0800 20000002
	ds_read_b128 a[36:39], v2 offset:2112                      // 0000000036BC: DBFE0840 24000002
	s_cmp_lt_i32 s7, 2                                         // 0000000036C4: BF048207
	s_cbranch_scc0 label_2035                                  // 0000000036C8: BF841CFF

00000000000036cc <label_0333>:
	s_waitcnt vmcnt(18) lgkmcnt(0)                             // 0000000036CC: BF8C4072
	v_mfma_f32_16x16x32_fp8_fp8 v[64:67], a[80:81], a[0:1], v[64:67]// 0000000036D0: D3F30040 1D020150
	v_mfma_f32_16x16x32_fp8_fp8 v[64:67], a[82:83], a[2:3], v[64:67]// 0000000036D8: D3F30040 1D020552
	buffer_load_dwordx4 a[144:147], v60, s[24:27], 0 offen     // 0000000036E0: E05C1000 8086903C
	v_mfma_f32_16x16x32_fp8_fp8 v[64:67], a[84:85], a[4:5], v[64:67]// 0000000036E8: D3F30040 1D020954
	v_mfma_f32_16x16x32_fp8_fp8 v[64:67], a[86:87], a[6:7], v[64:67]// 0000000036F0: D3F30040 1D020D56
	v_mfma_f32_16x16x32_fp8_fp8 v[84:87], a[88:89], a[0:1], v[84:87]// 0000000036F8: D3F30054 1D520158
	v_mfma_f32_16x16x32_fp8_fp8 v[84:87], a[90:91], a[2:3], v[84:87]// 000000003700: D3F30054 1D52055A
	buffer_load_dwordx4 a[148:151], v60, s[24:27], 0 offen offset:1024// 000000003708: E05C1400 8086943C
	v_mfma_f32_16x16x32_fp8_fp8 v[84:87], a[92:93], a[4:5], v[84:87]// 000000003710: D3F30054 1D52095C
	v_mfma_f32_16x16x32_fp8_fp8 v[84:87], a[94:95], a[6:7], v[84:87]// 000000003718: D3F30054 1D520D5E
	v_mfma_f32_16x16x32_fp8_fp8 v[104:107], a[96:97], a[0:1], v[104:107]// 000000003720: D3F30068 1DA20160
	v_mfma_f32_16x16x32_fp8_fp8 v[104:107], a[98:99], a[2:3], v[104:107]// 000000003728: D3F30068 1DA20562
	buffer_load_dwordx4 a[152:155], v61, s[24:27], 0 offen     // 000000003730: E05C1000 8086983D
	v_mfma_f32_16x16x32_fp8_fp8 v[104:107], a[100:101], a[4:5], v[104:107]// 000000003738: D3F30068 1DA20964
	v_mfma_f32_16x16x32_fp8_fp8 v[104:107], a[102:103], a[6:7], v[104:107]// 000000003740: D3F30068 1DA20D66
	v_mfma_f32_16x16x32_fp8_fp8 v[124:127], a[104:105], a[0:1], v[124:127]// 000000003748: D3F3007C 1DF20168
	v_mfma_f32_16x16x32_fp8_fp8 v[124:127], a[106:107], a[2:3], v[124:127]// 000000003750: D3F3007C 1DF2056A
	buffer_load_dwordx4 a[156:159], v61, s[24:27], 0 offen offset:1024// 000000003758: E05C1400 80869C3D
	v_mfma_f32_16x16x32_fp8_fp8 v[124:127], a[108:109], a[4:5], v[124:127]// 000000003760: D3F3007C 1DF2096C
	v_mfma_f32_16x16x32_fp8_fp8 v[124:127], a[110:111], a[6:7], v[124:127]// 000000003768: D3F3007C 1DF20D6E
	v_mfma_f32_16x16x32_fp8_fp8 v[68:71], a[80:81], a[8:9], v[68:71]// 000000003770: D3F30044 1D121150
	v_mfma_f32_16x16x32_fp8_fp8 v[68:71], a[82:83], a[10:11], v[68:71]// 000000003778: D3F30044 1D121552
	buffer_load_dwordx4 a[160:163], v62, s[24:27], 0 offen     // 000000003780: E05C1000 8086A03E
	v_mfma_f32_16x16x32_fp8_fp8 v[68:71], a[84:85], a[12:13], v[68:71]// 000000003788: D3F30044 1D121954
	v_mfma_f32_16x16x32_fp8_fp8 v[68:71], a[86:87], a[14:15], v[68:71]// 000000003790: D3F30044 1D121D56
	v_mfma_f32_16x16x32_fp8_fp8 v[88:91], a[88:89], a[8:9], v[88:91]// 000000003798: D3F30058 1D621158
	v_mfma_f32_16x16x32_fp8_fp8 v[88:91], a[90:91], a[10:11], v[88:91]// 0000000037A0: D3F30058 1D62155A
	buffer_load_dwordx4 a[164:167], v62, s[24:27], 0 offen offset:1024// 0000000037A8: E05C1400 8086A43E
	v_mfma_f32_16x16x32_fp8_fp8 v[88:91], a[92:93], a[12:13], v[88:91]// 0000000037B0: D3F30058 1D62195C
	v_mfma_f32_16x16x32_fp8_fp8 v[88:91], a[94:95], a[14:15], v[88:91]// 0000000037B8: D3F30058 1D621D5E
	v_mfma_f32_16x16x32_fp8_fp8 v[108:111], a[96:97], a[8:9], v[108:111]// 0000000037C0: D3F3006C 1DB21160
	v_mfma_f32_16x16x32_fp8_fp8 v[108:111], a[98:99], a[10:11], v[108:111]// 0000000037C8: D3F3006C 1DB21562
	buffer_load_dwordx4 a[168:171], v63, s[24:27], 0 offen     // 0000000037D0: E05C1000 8086A83F
	v_mfma_f32_16x16x32_fp8_fp8 v[108:111], a[100:101], a[12:13], v[108:111]// 0000000037D8: D3F3006C 1DB21964
	v_mfma_f32_16x16x32_fp8_fp8 v[108:111], a[102:103], a[14:15], v[108:111]// 0000000037E0: D3F3006C 1DB21D66
	v_mfma_f32_16x16x32_fp8_fp8 v[128:131], a[104:105], a[8:9], v[128:131]// 0000000037E8: D3F30080 1E021168
	v_mfma_f32_16x16x32_fp8_fp8 v[128:131], a[106:107], a[10:11], v[128:131]// 0000000037F0: D3F30080 1E02156A
	buffer_load_dwordx4 a[172:175], v63, s[24:27], 0 offen offset:1024// 0000000037F8: E05C1400 8086AC3F
	buffer_load_dword v50, s[20:23], 0 offen lds               // 000000003800: E0511000 80050032
	s_add_u32 m0, 0x100, s50                                   // 000000003808: 807C32FF 00000100
	v_mfma_f32_16x16x32_fp8_fp8 v[128:131], a[108:109], a[12:13], v[128:131]// 000000003810: D3F30080 1E02196C
	v_mfma_f32_16x16x32_fp8_fp8 v[128:131], a[110:111], a[14:15], v[128:131]// 000000003818: D3F30080 1E021D6E
	buffer_load_dword v51, s[20:23], 0 offen lds               // 000000003820: E0511000 80050033
	s_add_u32 m0, 0x200, s50                                   // 000000003828: 807C32FF 00000200
	v_mfma_f32_16x16x32_fp8_fp8 v[72:75], a[80:81], a[16:17], v[72:75]// 000000003830: D3F30048 1D222150
	v_mfma_f32_16x16x32_fp8_fp8 v[72:75], a[82:83], a[18:19], v[72:75]// 000000003838: D3F30048 1D222552
	buffer_load_dword v52, s[20:23], 0 offen lds               // 000000003840: E0511000 80050034
	s_add_u32 m0, 0x300, s50                                   // 000000003848: 807C32FF 00000300
	v_mfma_f32_16x16x32_fp8_fp8 v[72:75], a[84:85], a[20:21], v[72:75]// 000000003850: D3F30048 1D222954
	v_mfma_f32_16x16x32_fp8_fp8 v[72:75], a[86:87], a[22:23], v[72:75]// 000000003858: D3F30048 1D222D56
	buffer_load_dword v53, s[20:23], 0 offen lds               // 000000003860: E0511000 80050035
	s_add_u32 m0, 0x400, s50                                   // 000000003868: 807C32FF 00000400
	v_mfma_f32_16x16x32_fp8_fp8 v[92:95], a[88:89], a[16:17], v[92:95]// 000000003870: D3F3005C 1D722158
	v_mfma_f32_16x16x32_fp8_fp8 v[92:95], a[90:91], a[18:19], v[92:95]// 000000003878: D3F3005C 1D72255A
	buffer_load_dword v54, s[20:23], 0 offen lds               // 000000003880: E0511000 80050036
	s_add_u32 m0, 0x500, s50                                   // 000000003888: 807C32FF 00000500
	v_mfma_f32_16x16x32_fp8_fp8 v[92:95], a[92:93], a[20:21], v[92:95]// 000000003890: D3F3005C 1D72295C
	v_mfma_f32_16x16x32_fp8_fp8 v[92:95], a[94:95], a[22:23], v[92:95]// 000000003898: D3F3005C 1D722D5E
	buffer_load_dword v55, s[20:23], 0 offen lds               // 0000000038A0: E0511000 80050037
	s_add_u32 m0, 0x600, s50                                   // 0000000038A8: 807C32FF 00000600
	v_mfma_f32_16x16x32_fp8_fp8 v[112:115], a[96:97], a[16:17], v[112:115]// 0000000038B0: D3F30070 1DC22160
	v_mfma_f32_16x16x32_fp8_fp8 v[112:115], a[98:99], a[18:19], v[112:115]// 0000000038B8: D3F30070 1DC22562
	buffer_load_dword v56, s[20:23], 0 offen lds               // 0000000038C0: E0511000 80050038
	s_add_u32 m0, 0x700, s50                                   // 0000000038C8: 807C32FF 00000700
	v_mfma_f32_16x16x32_fp8_fp8 v[112:115], a[100:101], a[20:21], v[112:115]// 0000000038D0: D3F30070 1DC22964
	v_mfma_f32_16x16x32_fp8_fp8 v[112:115], a[102:103], a[22:23], v[112:115]// 0000000038D8: D3F30070 1DC22D66
	buffer_load_dword v57, s[20:23], 0 offen lds               // 0000000038E0: E0511000 80050039
	s_add_u32 m0, 0x800, s50                                   // 0000000038E8: 807C32FF 00000800
	v_mfma_f32_16x16x32_fp8_fp8 v[132:135], a[104:105], a[16:17], v[132:135]// 0000000038F0: D3F30084 1E122168
	v_mfma_f32_16x16x32_fp8_fp8 v[132:135], a[106:107], a[18:19], v[132:135]// 0000000038F8: D3F30084 1E12256A
	buffer_load_dword v58, s[20:23], 0 offen lds               // 000000003900: E0511000 8005003A
	s_add_u32 m0, 0x900, s50                                   // 000000003908: 807C32FF 00000900
	v_mfma_f32_16x16x32_fp8_fp8 v[132:135], a[108:109], a[20:21], v[132:135]// 000000003910: D3F30084 1E12296C
	v_mfma_f32_16x16x32_fp8_fp8 v[132:135], a[110:111], a[22:23], v[132:135]// 000000003918: D3F30084 1E122D6E
	buffer_load_dword v59, s[20:23], 0 offen lds               // 000000003920: E0511000 8005003B
	s_add_u32 m0, 0, s48                                       // 000000003928: 807C3080
	v_mfma_f32_16x16x32_fp8_fp8 v[76:79], a[80:81], a[24:25], v[76:79]// 00000000392C: D3F3004C 1D323150
	v_mfma_f32_16x16x32_fp8_fp8 v[76:79], a[82:83], a[26:27], v[76:79]// 000000003934: D3F3004C 1D323552
	v_mfma_f32_16x16x32_fp8_fp8 v[76:79], a[84:85], a[28:29], v[76:79]// 00000000393C: D3F3004C 1D323954
	v_mfma_f32_16x16x32_fp8_fp8 v[76:79], a[86:87], a[30:31], v[76:79]// 000000003944: D3F3004C 1D323D56
	v_mfma_f32_16x16x32_fp8_fp8 v[96:99], a[88:89], a[24:25], v[96:99]// 00000000394C: D3F30060 1D823158
	v_mfma_f32_16x16x32_fp8_fp8 v[96:99], a[90:91], a[26:27], v[96:99]// 000000003954: D3F30060 1D82355A
	v_mfma_f32_16x16x32_fp8_fp8 v[96:99], a[92:93], a[28:29], v[96:99]// 00000000395C: D3F30060 1D82395C
	v_mfma_f32_16x16x32_fp8_fp8 v[96:99], a[94:95], a[30:31], v[96:99]// 000000003964: D3F30060 1D823D5E
	v_mfma_f32_16x16x32_fp8_fp8 v[116:119], a[96:97], a[24:25], v[116:119]// 00000000396C: D3F30074 1DD23160
	v_mfma_f32_16x16x32_fp8_fp8 v[116:119], a[98:99], a[26:27], v[116:119]// 000000003974: D3F30074 1DD23562
	v_mfma_f32_16x16x32_fp8_fp8 v[116:119], a[100:101], a[28:29], v[116:119]// 00000000397C: D3F30074 1DD23964
	v_mfma_f32_16x16x32_fp8_fp8 v[116:119], a[102:103], a[30:31], v[116:119]// 000000003984: D3F30074 1DD23D66
	v_mfma_f32_16x16x32_fp8_fp8 v[136:139], a[104:105], a[24:25], v[136:139]// 00000000398C: D3F30088 1E223168
	v_mfma_f32_16x16x32_fp8_fp8 v[136:139], a[106:107], a[26:27], v[136:139]// 000000003994: D3F30088 1E22356A
	v_mfma_f32_16x16x32_fp8_fp8 v[136:139], a[108:109], a[28:29], v[136:139]// 00000000399C: D3F30088 1E22396C
	v_mfma_f32_16x16x32_fp8_fp8 v[136:139], a[110:111], a[30:31], v[136:139]// 0000000039A4: D3F30088 1E223D6E
	v_mfma_f32_16x16x32_fp8_fp8 v[80:83], a[80:81], a[32:33], v[80:83]// 0000000039AC: D3F30050 1D424150
	v_mfma_f32_16x16x32_fp8_fp8 v[80:83], a[82:83], a[34:35], v[80:83]// 0000000039B4: D3F30050 1D424552
	v_mfma_f32_16x16x32_fp8_fp8 v[80:83], a[84:85], a[36:37], v[80:83]// 0000000039BC: D3F30050 1D424954
	v_mfma_f32_16x16x32_fp8_fp8 v[80:83], a[86:87], a[38:39], v[80:83]// 0000000039C4: D3F30050 1D424D56
	v_mfma_f32_16x16x32_fp8_fp8 v[100:103], a[88:89], a[32:33], v[100:103]// 0000000039CC: D3F30064 1D924158
	v_mfma_f32_16x16x32_fp8_fp8 v[100:103], a[90:91], a[34:35], v[100:103]// 0000000039D4: D3F30064 1D92455A
	v_mfma_f32_16x16x32_fp8_fp8 v[100:103], a[92:93], a[36:37], v[100:103]// 0000000039DC: D3F30064 1D92495C
	v_mfma_f32_16x16x32_fp8_fp8 v[100:103], a[94:95], a[38:39], v[100:103]// 0000000039E4: D3F30064 1D924D5E
	v_mfma_f32_16x16x32_fp8_fp8 v[120:123], a[96:97], a[32:33], v[120:123]// 0000000039EC: D3F30078 1DE24160
	v_mfma_f32_16x16x32_fp8_fp8 v[120:123], a[98:99], a[34:35], v[120:123]// 0000000039F4: D3F30078 1DE24562
	v_mfma_f32_16x16x32_fp8_fp8 v[120:123], a[100:101], a[36:37], v[120:123]// 0000000039FC: D3F30078 1DE24964
	v_mfma_f32_16x16x32_fp8_fp8 v[120:123], a[102:103], a[38:39], v[120:123]// 000000003A04: D3F30078 1DE24D66
	v_mfma_f32_16x16x32_fp8_fp8 v[140:143], a[104:105], a[32:33], v[140:143]// 000000003A0C: D3F3008C 1E324168
	v_mfma_f32_16x16x32_fp8_fp8 v[140:143], a[106:107], a[34:35], v[140:143]// 000000003A14: D3F3008C 1E32456A
	v_mfma_f32_16x16x32_fp8_fp8 v[140:143], a[108:109], a[36:37], v[140:143]// 000000003A1C: D3F3008C 1E32496C
	v_mfma_f32_16x16x32_fp8_fp8 v[140:143], a[110:111], a[38:39], v[140:143]// 000000003A24: D3F3008C 1E324D6E
	s_waitcnt vmcnt(18)                                        // 000000003A2C: BF8C4F72
	s_barrier                                                  // 000000003A30: BF8A0000
	v_mfma_f32_16x16x32_fp8_fp8 v[144:147], a[112:113], a[0:1], v[144:147]// 000000003A34: D3F30090 1E420170
	v_mfma_f32_16x16x32_fp8_fp8 v[144:147], a[114:115], a[2:3], v[144:147]// 000000003A3C: D3F30090 1E420572
	buffer_load_dwordx4 a[80:83], v60, s[84:87], 0 offen       // 000000003A44: E05C1000 8095503C
	v_mfma_f32_16x16x32_fp8_fp8 v[144:147], a[116:117], a[4:5], v[144:147]// 000000003A4C: D3F30090 1E420974
	v_mfma_f32_16x16x32_fp8_fp8 v[144:147], a[118:119], a[6:7], v[144:147]// 000000003A54: D3F30090 1E420D76
	ds_read_b128 a[40:43], v2 offset:10368                     // 000000003A5C: DBFE2880 28000002
	ds_read_b128 a[44:47], v2 offset:10432                     // 000000003A64: DBFE28C0 2C000002
	v_mfma_f32_16x16x32_fp8_fp8 v[164:167], a[120:121], a[0:1], v[164:167]// 000000003A6C: D3F300A4 1E920178
	v_mfma_f32_16x16x32_fp8_fp8 v[164:167], a[122:123], a[2:3], v[164:167]// 000000003A74: D3F300A4 1E92057A
	buffer_load_dwordx4 a[84:87], v60, s[84:87], 0 offen offset:1024// 000000003A7C: E05C1400 8095543C
	v_mfma_f32_16x16x32_fp8_fp8 v[164:167], a[124:125], a[4:5], v[164:167]// 000000003A84: D3F300A4 1E92097C
	v_mfma_f32_16x16x32_fp8_fp8 v[164:167], a[126:127], a[6:7], v[164:167]// 000000003A8C: D3F300A4 1E920D7E
	ds_read_b128 a[48:51], v2 offset:10880                     // 000000003A94: DBFE2A80 30000002
	ds_read_b128 a[52:55], v2 offset:10944                     // 000000003A9C: DBFE2AC0 34000002
	v_mfma_f32_16x16x32_fp8_fp8 v[184:187], a[128:129], a[0:1], v[184:187]// 000000003AA4: D3F300B8 1EE20180
	v_mfma_f32_16x16x32_fp8_fp8 v[184:187], a[130:131], a[2:3], v[184:187]// 000000003AAC: D3F300B8 1EE20582
	buffer_load_dwordx4 a[88:91], v61, s[84:87], 0 offen       // 000000003AB4: E05C1000 8095583D
	v_mfma_f32_16x16x32_fp8_fp8 v[184:187], a[132:133], a[4:5], v[184:187]// 000000003ABC: D3F300B8 1EE20984
	v_mfma_f32_16x16x32_fp8_fp8 v[184:187], a[134:135], a[6:7], v[184:187]// 000000003AC4: D3F300B8 1EE20D86
	ds_read_b128 a[56:59], v2 offset:11392                     // 000000003ACC: DBFE2C80 38000002
	ds_read_b128 a[60:63], v2 offset:11456                     // 000000003AD4: DBFE2CC0 3C000002
	v_mfma_f32_16x16x32_fp8_fp8 v[204:207], a[136:137], a[0:1], v[204:207]// 000000003ADC: D3F300CC 1F320188
	v_mfma_f32_16x16x32_fp8_fp8 v[204:207], a[138:139], a[2:3], v[204:207]// 000000003AE4: D3F300CC 1F32058A
	buffer_load_dwordx4 a[92:95], v61, s[84:87], 0 offen offset:1024// 000000003AEC: E05C1400 80955C3D
	v_mfma_f32_16x16x32_fp8_fp8 v[204:207], a[140:141], a[4:5], v[204:207]// 000000003AF4: D3F300CC 1F32098C
	v_mfma_f32_16x16x32_fp8_fp8 v[204:207], a[142:143], a[6:7], v[204:207]// 000000003AFC: D3F300CC 1F320D8E
	ds_read_b128 a[64:67], v2 offset:11904                     // 000000003B04: DBFE2E80 40000002
	ds_read_b128 a[68:71], v2 offset:11968                     // 000000003B0C: DBFE2EC0 44000002
	v_mfma_f32_16x16x32_fp8_fp8 v[148:151], a[112:113], a[8:9], v[148:151]// 000000003B14: D3F30094 1E521170
	v_mfma_f32_16x16x32_fp8_fp8 v[148:151], a[114:115], a[10:11], v[148:151]// 000000003B1C: D3F30094 1E521572
	buffer_load_dwordx4 a[96:99], v62, s[84:87], 0 offen       // 000000003B24: E05C1000 8095603E
	v_mfma_f32_16x16x32_fp8_fp8 v[148:151], a[116:117], a[12:13], v[148:151]// 000000003B2C: D3F30094 1E521974
	v_mfma_f32_16x16x32_fp8_fp8 v[148:151], a[118:119], a[14:15], v[148:151]// 000000003B34: D3F30094 1E521D76
	ds_read_b128 a[72:75], v2 offset:12416                     // 000000003B3C: DBFE3080 48000002
	ds_read_b128 a[76:79], v2 offset:12480                     // 000000003B44: DBFE30C0 4C000002
	v_mfma_f32_16x16x32_fp8_fp8 v[168:171], a[120:121], a[8:9], v[168:171]// 000000003B4C: D3F300A8 1EA21178
	v_mfma_f32_16x16x32_fp8_fp8 v[168:171], a[122:123], a[10:11], v[168:171]// 000000003B54: D3F300A8 1EA2157A
	buffer_load_dwordx4 a[100:103], v62, s[84:87], 0 offen offset:1024// 000000003B5C: E05C1400 8095643E
	v_mfma_f32_16x16x32_fp8_fp8 v[168:171], a[124:125], a[12:13], v[168:171]// 000000003B64: D3F300A8 1EA2197C
	v_mfma_f32_16x16x32_fp8_fp8 v[168:171], a[126:127], a[14:15], v[168:171]// 000000003B6C: D3F300A8 1EA21D7E
	v_mfma_f32_16x16x32_fp8_fp8 v[188:191], a[128:129], a[8:9], v[188:191]// 000000003B74: D3F300BC 1EF21180
	v_mfma_f32_16x16x32_fp8_fp8 v[188:191], a[130:131], a[10:11], v[188:191]// 000000003B7C: D3F300BC 1EF21582
	buffer_load_dwordx4 a[104:107], v63, s[84:87], 0 offen     // 000000003B84: E05C1000 8095683F
	v_mfma_f32_16x16x32_fp8_fp8 v[188:191], a[132:133], a[12:13], v[188:191]// 000000003B8C: D3F300BC 1EF21984
	v_mfma_f32_16x16x32_fp8_fp8 v[188:191], a[134:135], a[14:15], v[188:191]// 000000003B94: D3F300BC 1EF21D86
	v_mfma_f32_16x16x32_fp8_fp8 v[208:211], a[136:137], a[8:9], v[208:211]// 000000003B9C: D3F300D0 1F421188
	v_mfma_f32_16x16x32_fp8_fp8 v[208:211], a[138:139], a[10:11], v[208:211]// 000000003BA4: D3F300D0 1F42158A
	buffer_load_dwordx4 a[108:111], v63, s[84:87], 0 offen offset:1024// 000000003BAC: E05C1400 80956C3F
	v_mfma_f32_16x16x32_fp8_fp8 v[208:211], a[140:141], a[12:13], v[208:211]// 000000003BB4: D3F300D0 1F42198C
	v_mfma_f32_16x16x32_fp8_fp8 v[208:211], a[142:143], a[14:15], v[208:211]// 000000003BBC: D3F300D0 1F421D8E
	v_mfma_f32_16x16x32_fp8_fp8 v[152:155], a[112:113], a[16:17], v[152:155]// 000000003BC4: D3F30098 1E622170
	v_mfma_f32_16x16x32_fp8_fp8 v[152:155], a[114:115], a[18:19], v[152:155]// 000000003BCC: D3F30098 1E622572
	v_mfma_f32_16x16x32_fp8_fp8 v[152:155], a[116:117], a[20:21], v[152:155]// 000000003BD4: D3F30098 1E622974
	v_mfma_f32_16x16x32_fp8_fp8 v[152:155], a[118:119], a[22:23], v[152:155]// 000000003BDC: D3F30098 1E622D76
	v_mfma_f32_16x16x32_fp8_fp8 v[172:175], a[120:121], a[16:17], v[172:175]// 000000003BE4: D3F300AC 1EB22178
	v_mfma_f32_16x16x32_fp8_fp8 v[172:175], a[122:123], a[18:19], v[172:175]// 000000003BEC: D3F300AC 1EB2257A
	v_mfma_f32_16x16x32_fp8_fp8 v[172:175], a[124:125], a[20:21], v[172:175]// 000000003BF4: D3F300AC 1EB2297C
	v_mfma_f32_16x16x32_fp8_fp8 v[172:175], a[126:127], a[22:23], v[172:175]// 000000003BFC: D3F300AC 1EB22D7E
	v_mfma_f32_16x16x32_fp8_fp8 v[192:195], a[128:129], a[16:17], v[192:195]// 000000003C04: D3F300C0 1F022180
	v_mfma_f32_16x16x32_fp8_fp8 v[192:195], a[130:131], a[18:19], v[192:195]// 000000003C0C: D3F300C0 1F022582
	v_mfma_f32_16x16x32_fp8_fp8 v[192:195], a[132:133], a[20:21], v[192:195]// 000000003C14: D3F300C0 1F022984
	v_mfma_f32_16x16x32_fp8_fp8 v[192:195], a[134:135], a[22:23], v[192:195]// 000000003C1C: D3F300C0 1F022D86
	v_mfma_f32_16x16x32_fp8_fp8 v[212:215], a[136:137], a[16:17], v[212:215]// 000000003C24: D3F300D4 1F522188
	v_mfma_f32_16x16x32_fp8_fp8 v[212:215], a[138:139], a[18:19], v[212:215]// 000000003C2C: D3F300D4 1F52258A
	v_mfma_f32_16x16x32_fp8_fp8 v[212:215], a[140:141], a[20:21], v[212:215]// 000000003C34: D3F300D4 1F52298C
	v_mfma_f32_16x16x32_fp8_fp8 v[212:215], a[142:143], a[22:23], v[212:215]// 000000003C3C: D3F300D4 1F522D8E
	v_mfma_f32_16x16x32_fp8_fp8 v[156:159], a[112:113], a[24:25], v[156:159]// 000000003C44: D3F3009C 1E723170
	v_mfma_f32_16x16x32_fp8_fp8 v[156:159], a[114:115], a[26:27], v[156:159]// 000000003C4C: D3F3009C 1E723572
	v_mfma_f32_16x16x32_fp8_fp8 v[156:159], a[116:117], a[28:29], v[156:159]// 000000003C54: D3F3009C 1E723974
	v_mfma_f32_16x16x32_fp8_fp8 v[156:159], a[118:119], a[30:31], v[156:159]// 000000003C5C: D3F3009C 1E723D76
	v_mfma_f32_16x16x32_fp8_fp8 v[176:179], a[120:121], a[24:25], v[176:179]// 000000003C64: D3F300B0 1EC23178
	v_mfma_f32_16x16x32_fp8_fp8 v[176:179], a[122:123], a[26:27], v[176:179]// 000000003C6C: D3F300B0 1EC2357A
	v_mfma_f32_16x16x32_fp8_fp8 v[176:179], a[124:125], a[28:29], v[176:179]// 000000003C74: D3F300B0 1EC2397C
	v_mfma_f32_16x16x32_fp8_fp8 v[176:179], a[126:127], a[30:31], v[176:179]// 000000003C7C: D3F300B0 1EC23D7E
	v_mfma_f32_16x16x32_fp8_fp8 v[196:199], a[128:129], a[24:25], v[196:199]// 000000003C84: D3F300C4 1F123180
	v_mfma_f32_16x16x32_fp8_fp8 v[196:199], a[130:131], a[26:27], v[196:199]// 000000003C8C: D3F300C4 1F123582
	v_mfma_f32_16x16x32_fp8_fp8 v[196:199], a[132:133], a[28:29], v[196:199]// 000000003C94: D3F300C4 1F123984
	v_mfma_f32_16x16x32_fp8_fp8 v[196:199], a[134:135], a[30:31], v[196:199]// 000000003C9C: D3F300C4 1F123D86
	v_mfma_f32_16x16x32_fp8_fp8 v[216:219], a[136:137], a[24:25], v[216:219]// 000000003CA4: D3F300D8 1F623188
	v_mfma_f32_16x16x32_fp8_fp8 v[216:219], a[138:139], a[26:27], v[216:219]// 000000003CAC: D3F300D8 1F62358A
	v_mfma_f32_16x16x32_fp8_fp8 v[216:219], a[140:141], a[28:29], v[216:219]// 000000003CB4: D3F300D8 1F62398C
	v_mfma_f32_16x16x32_fp8_fp8 v[216:219], a[142:143], a[30:31], v[216:219]// 000000003CBC: D3F300D8 1F623D8E
	v_mfma_f32_16x16x32_fp8_fp8 v[160:163], a[112:113], a[32:33], v[160:163]// 000000003CC4: D3F300A0 1E824170
	v_mfma_f32_16x16x32_fp8_fp8 v[160:163], a[114:115], a[34:35], v[160:163]// 000000003CCC: D3F300A0 1E824572
	v_mfma_f32_16x16x32_fp8_fp8 v[160:163], a[116:117], a[36:37], v[160:163]// 000000003CD4: D3F300A0 1E824974
	v_mfma_f32_16x16x32_fp8_fp8 v[160:163], a[118:119], a[38:39], v[160:163]// 000000003CDC: D3F300A0 1E824D76
	v_mfma_f32_16x16x32_fp8_fp8 v[180:183], a[120:121], a[32:33], v[180:183]// 000000003CE4: D3F300B4 1ED24178
	v_mfma_f32_16x16x32_fp8_fp8 v[180:183], a[122:123], a[34:35], v[180:183]// 000000003CEC: D3F300B4 1ED2457A
	v_mfma_f32_16x16x32_fp8_fp8 v[180:183], a[124:125], a[36:37], v[180:183]// 000000003CF4: D3F300B4 1ED2497C
	v_mfma_f32_16x16x32_fp8_fp8 v[180:183], a[126:127], a[38:39], v[180:183]// 000000003CFC: D3F300B4 1ED24D7E
	v_mfma_f32_16x16x32_fp8_fp8 v[200:203], a[128:129], a[32:33], v[200:203]// 000000003D04: D3F300C8 1F224180
	s_add_u32 s60, 0x180, s80                                  // 000000003D0C: 803C50FF 00000180
	s_cmp_lt_u32 s60, s81                                      // 000000003D14: BF0A513C
	s_cselect_b32 s57, s57, 0                                  // 000000003D18: 85398039
	v_mfma_f32_16x16x32_fp8_fp8 v[200:203], a[130:131], a[34:35], v[200:203]// 000000003D1C: D3F300C8 1F224582
	s_add_u32 s60, 0x100, s80                                  // 000000003D24: 803C50FF 00000100
	s_cmp_lt_u32 s60, s81                                      // 000000003D2C: BF0A513C
	s_cselect_b32 s58, s58, 0                                  // 000000003D30: 853A803A
	v_mfma_f32_16x16x32_fp8_fp8 v[200:203], a[132:133], a[36:37], v[200:203]// 000000003D34: D3F300C8 1F224984
	s_add_u32 s60, 0x100, s80                                  // 000000003D3C: 803C50FF 00000100
	s_cmp_lt_u32 s60, s81                                      // 000000003D44: BF0A513C
	s_cselect_b32 s83, s83, 0                                  // 000000003D48: 85538053
	v_mfma_f32_16x16x32_fp8_fp8 v[200:203], a[134:135], a[38:39], v[200:203]// 000000003D4C: D3F300C8 1F224D86
	s_add_u32 s24, s58, s24                                    // 000000003D54: 8018183A
	s_addc_u32 s25, 0, s25                                     // 000000003D58: 82191980
	v_mfma_f32_16x16x32_fp8_fp8 v[220:223], a[136:137], a[32:33], v[220:223]// 000000003D5C: D3F300DC 1F724188
	s_add_u32 s20, s57, s20                                    // 000000003D64: 80141439
	s_addc_u32 s21, 0, s21                                     // 000000003D68: 82151580
	v_mfma_f32_16x16x32_fp8_fp8 v[220:223], a[138:139], a[34:35], v[220:223]// 000000003D6C: D3F300DC 1F72458A
	s_add_u32 s84, s83, s84                                    // 000000003D74: 80545453
	s_addc_u32 s85, 0, s85                                     // 000000003D78: 82555580
	v_mfma_f32_16x16x32_fp8_fp8 v[220:223], a[140:141], a[36:37], v[220:223]// 000000003D7C: D3F300DC 1F72498C
	v_mfma_f32_16x16x32_fp8_fp8 v[220:223], a[142:143], a[38:39], v[220:223]// 000000003D84: D3F300DC 1F724D8E
	s_addk_i32 s80, 0x80                                       // 000000003D8C: B7500080
	s_cmp_lt_i32 s80, s81                                      // 000000003D90: BF045150
	s_cbranch_scc0 label_0D66                                  // 000000003D94: BF840880
	s_waitcnt vmcnt(18) lgkmcnt(0)                             // 000000003D98: BF8C4072
	v_mfma_f32_16x16x32_fp8_fp8 v[64:67], a[144:145], a[40:41], v[64:67]// 000000003D9C: D3F30040 1D025190
	v_mfma_f32_16x16x32_fp8_fp8 v[64:67], a[146:147], a[42:43], v[64:67]// 000000003DA4: D3F30040 1D025592
	buffer_load_dwordx4 a[112:115], v60, s[24:27], 0 offen     // 000000003DAC: E05C1000 8086703C
	v_mfma_f32_16x16x32_fp8_fp8 v[64:67], a[148:149], a[44:45], v[64:67]// 000000003DB4: D3F30040 1D025994
	v_mfma_f32_16x16x32_fp8_fp8 v[64:67], a[150:151], a[46:47], v[64:67]// 000000003DBC: D3F30040 1D025D96
	v_mfma_f32_16x16x32_fp8_fp8 v[84:87], a[152:153], a[40:41], v[84:87]// 000000003DC4: D3F30054 1D525198
	v_mfma_f32_16x16x32_fp8_fp8 v[84:87], a[154:155], a[42:43], v[84:87]// 000000003DCC: D3F30054 1D52559A
	buffer_load_dwordx4 a[116:119], v60, s[24:27], 0 offen offset:1024// 000000003DD4: E05C1400 8086743C
	v_mfma_f32_16x16x32_fp8_fp8 v[84:87], a[156:157], a[44:45], v[84:87]// 000000003DDC: D3F30054 1D52599C
	v_mfma_f32_16x16x32_fp8_fp8 v[84:87], a[158:159], a[46:47], v[84:87]// 000000003DE4: D3F30054 1D525D9E
	v_mfma_f32_16x16x32_fp8_fp8 v[104:107], a[160:161], a[40:41], v[104:107]// 000000003DEC: D3F30068 1DA251A0
	v_mfma_f32_16x16x32_fp8_fp8 v[104:107], a[162:163], a[42:43], v[104:107]// 000000003DF4: D3F30068 1DA255A2
	buffer_load_dwordx4 a[120:123], v61, s[24:27], 0 offen     // 000000003DFC: E05C1000 8086783D
	v_mfma_f32_16x16x32_fp8_fp8 v[104:107], a[164:165], a[44:45], v[104:107]// 000000003E04: D3F30068 1DA259A4
	v_mfma_f32_16x16x32_fp8_fp8 v[104:107], a[166:167], a[46:47], v[104:107]// 000000003E0C: D3F30068 1DA25DA6
	v_mfma_f32_16x16x32_fp8_fp8 v[124:127], a[168:169], a[40:41], v[124:127]// 000000003E14: D3F3007C 1DF251A8
	v_mfma_f32_16x16x32_fp8_fp8 v[124:127], a[170:171], a[42:43], v[124:127]// 000000003E1C: D3F3007C 1DF255AA
	buffer_load_dwordx4 a[124:127], v61, s[24:27], 0 offen offset:1024// 000000003E24: E05C1400 80867C3D
	v_mfma_f32_16x16x32_fp8_fp8 v[124:127], a[172:173], a[44:45], v[124:127]// 000000003E2C: D3F3007C 1DF259AC
	v_mfma_f32_16x16x32_fp8_fp8 v[124:127], a[174:175], a[46:47], v[124:127]// 000000003E34: D3F3007C 1DF25DAE
	v_mfma_f32_16x16x32_fp8_fp8 v[68:71], a[144:145], a[48:49], v[68:71]// 000000003E3C: D3F30044 1D126190
	v_mfma_f32_16x16x32_fp8_fp8 v[68:71], a[146:147], a[50:51], v[68:71]// 000000003E44: D3F30044 1D126592
	buffer_load_dwordx4 a[128:131], v62, s[24:27], 0 offen     // 000000003E4C: E05C1000 8086803E
	v_mfma_f32_16x16x32_fp8_fp8 v[68:71], a[148:149], a[52:53], v[68:71]// 000000003E54: D3F30044 1D126994
	v_mfma_f32_16x16x32_fp8_fp8 v[68:71], a[150:151], a[54:55], v[68:71]// 000000003E5C: D3F30044 1D126D96
	v_mfma_f32_16x16x32_fp8_fp8 v[88:91], a[152:153], a[48:49], v[88:91]// 000000003E64: D3F30058 1D626198
	v_mfma_f32_16x16x32_fp8_fp8 v[88:91], a[154:155], a[50:51], v[88:91]// 000000003E6C: D3F30058 1D62659A
	buffer_load_dwordx4 a[132:135], v62, s[24:27], 0 offen offset:1024// 000000003E74: E05C1400 8086843E
	v_mfma_f32_16x16x32_fp8_fp8 v[88:91], a[156:157], a[52:53], v[88:91]// 000000003E7C: D3F30058 1D62699C
	v_mfma_f32_16x16x32_fp8_fp8 v[88:91], a[158:159], a[54:55], v[88:91]// 000000003E84: D3F30058 1D626D9E
	v_mfma_f32_16x16x32_fp8_fp8 v[108:111], a[160:161], a[48:49], v[108:111]// 000000003E8C: D3F3006C 1DB261A0
	v_mfma_f32_16x16x32_fp8_fp8 v[108:111], a[162:163], a[50:51], v[108:111]// 000000003E94: D3F3006C 1DB265A2
	buffer_load_dwordx4 a[136:139], v63, s[24:27], 0 offen     // 000000003E9C: E05C1000 8086883F
	v_mfma_f32_16x16x32_fp8_fp8 v[108:111], a[164:165], a[52:53], v[108:111]// 000000003EA4: D3F3006C 1DB269A4
	v_mfma_f32_16x16x32_fp8_fp8 v[108:111], a[166:167], a[54:55], v[108:111]// 000000003EAC: D3F3006C 1DB26DA6
	v_mfma_f32_16x16x32_fp8_fp8 v[128:131], a[168:169], a[48:49], v[128:131]// 000000003EB4: D3F30080 1E0261A8
	v_mfma_f32_16x16x32_fp8_fp8 v[128:131], a[170:171], a[50:51], v[128:131]// 000000003EBC: D3F30080 1E0265AA
	buffer_load_dwordx4 a[140:143], v63, s[24:27], 0 offen offset:1024// 000000003EC4: E05C1400 80868C3F
	buffer_load_dword v50, s[20:23], 0 offen lds               // 000000003ECC: E0511000 80050032
	s_add_u32 m0, 0x100, s48                                   // 000000003ED4: 807C30FF 00000100
	v_mfma_f32_16x16x32_fp8_fp8 v[128:131], a[172:173], a[52:53], v[128:131]// 000000003EDC: D3F30080 1E0269AC
	v_mfma_f32_16x16x32_fp8_fp8 v[128:131], a[174:175], a[54:55], v[128:131]// 000000003EE4: D3F30080 1E026DAE
	buffer_load_dword v51, s[20:23], 0 offen lds               // 000000003EEC: E0511000 80050033
	s_add_u32 m0, 0x200, s48                                   // 000000003EF4: 807C30FF 00000200
	v_mfma_f32_16x16x32_fp8_fp8 v[72:75], a[144:145], a[56:57], v[72:75]// 000000003EFC: D3F30048 1D227190
	v_mfma_f32_16x16x32_fp8_fp8 v[72:75], a[146:147], a[58:59], v[72:75]// 000000003F04: D3F30048 1D227592
	buffer_load_dword v52, s[20:23], 0 offen lds               // 000000003F0C: E0511000 80050034
	s_add_u32 m0, 0x300, s48                                   // 000000003F14: 807C30FF 00000300
	v_mfma_f32_16x16x32_fp8_fp8 v[72:75], a[148:149], a[60:61], v[72:75]// 000000003F1C: D3F30048 1D227994
	v_mfma_f32_16x16x32_fp8_fp8 v[72:75], a[150:151], a[62:63], v[72:75]// 000000003F24: D3F30048 1D227D96
	buffer_load_dword v53, s[20:23], 0 offen lds               // 000000003F2C: E0511000 80050035
	s_add_u32 m0, 0x400, s48                                   // 000000003F34: 807C30FF 00000400
	v_mfma_f32_16x16x32_fp8_fp8 v[92:95], a[152:153], a[56:57], v[92:95]// 000000003F3C: D3F3005C 1D727198
	v_mfma_f32_16x16x32_fp8_fp8 v[92:95], a[154:155], a[58:59], v[92:95]// 000000003F44: D3F3005C 1D72759A
	buffer_load_dword v54, s[20:23], 0 offen lds               // 000000003F4C: E0511000 80050036
	s_add_u32 m0, 0x500, s48                                   // 000000003F54: 807C30FF 00000500
	v_mfma_f32_16x16x32_fp8_fp8 v[92:95], a[156:157], a[60:61], v[92:95]// 000000003F5C: D3F3005C 1D72799C
	v_mfma_f32_16x16x32_fp8_fp8 v[92:95], a[158:159], a[62:63], v[92:95]// 000000003F64: D3F3005C 1D727D9E
	buffer_load_dword v55, s[20:23], 0 offen lds               // 000000003F6C: E0511000 80050037
	s_add_u32 m0, 0x600, s48                                   // 000000003F74: 807C30FF 00000600
	v_mfma_f32_16x16x32_fp8_fp8 v[112:115], a[160:161], a[56:57], v[112:115]// 000000003F7C: D3F30070 1DC271A0
	v_mfma_f32_16x16x32_fp8_fp8 v[112:115], a[162:163], a[58:59], v[112:115]// 000000003F84: D3F30070 1DC275A2
	buffer_load_dword v56, s[20:23], 0 offen lds               // 000000003F8C: E0511000 80050038
	s_add_u32 m0, 0x700, s48                                   // 000000003F94: 807C30FF 00000700
	v_mfma_f32_16x16x32_fp8_fp8 v[112:115], a[164:165], a[60:61], v[112:115]// 000000003F9C: D3F30070 1DC279A4
	v_mfma_f32_16x16x32_fp8_fp8 v[112:115], a[166:167], a[62:63], v[112:115]// 000000003FA4: D3F30070 1DC27DA6
	buffer_load_dword v57, s[20:23], 0 offen lds               // 000000003FAC: E0511000 80050039
	s_add_u32 m0, 0x800, s48                                   // 000000003FB4: 807C30FF 00000800
	v_mfma_f32_16x16x32_fp8_fp8 v[132:135], a[168:169], a[56:57], v[132:135]// 000000003FBC: D3F30084 1E1271A8
	v_mfma_f32_16x16x32_fp8_fp8 v[132:135], a[170:171], a[58:59], v[132:135]// 000000003FC4: D3F30084 1E1275AA
	buffer_load_dword v58, s[20:23], 0 offen lds               // 000000003FCC: E0511000 8005003A
	s_add_u32 m0, 0x900, s48                                   // 000000003FD4: 807C30FF 00000900
	v_mfma_f32_16x16x32_fp8_fp8 v[132:135], a[172:173], a[60:61], v[132:135]// 000000003FDC: D3F30084 1E1279AC
	v_mfma_f32_16x16x32_fp8_fp8 v[132:135], a[174:175], a[62:63], v[132:135]// 000000003FE4: D3F30084 1E127DAE
	buffer_load_dword v59, s[20:23], 0 offen lds               // 000000003FEC: E0511000 8005003B
	s_add_u32 m0, 0, s49                                       // 000000003FF4: 807C3180
	v_mfma_f32_16x16x32_fp8_fp8 v[76:79], a[144:145], a[64:65], v[76:79]// 000000003FF8: D3F3004C 1D328190
	v_mfma_f32_16x16x32_fp8_fp8 v[76:79], a[146:147], a[66:67], v[76:79]// 000000004000: D3F3004C 1D328592
	v_mfma_f32_16x16x32_fp8_fp8 v[76:79], a[148:149], a[68:69], v[76:79]// 000000004008: D3F3004C 1D328994
	v_mfma_f32_16x16x32_fp8_fp8 v[76:79], a[150:151], a[70:71], v[76:79]// 000000004010: D3F3004C 1D328D96
	v_mfma_f32_16x16x32_fp8_fp8 v[96:99], a[152:153], a[64:65], v[96:99]// 000000004018: D3F30060 1D828198
	v_mfma_f32_16x16x32_fp8_fp8 v[96:99], a[154:155], a[66:67], v[96:99]// 000000004020: D3F30060 1D82859A
	v_mfma_f32_16x16x32_fp8_fp8 v[96:99], a[156:157], a[68:69], v[96:99]// 000000004028: D3F30060 1D82899C
	v_mfma_f32_16x16x32_fp8_fp8 v[96:99], a[158:159], a[70:71], v[96:99]// 000000004030: D3F30060 1D828D9E
	v_mfma_f32_16x16x32_fp8_fp8 v[116:119], a[160:161], a[64:65], v[116:119]// 000000004038: D3F30074 1DD281A0
	v_mfma_f32_16x16x32_fp8_fp8 v[116:119], a[162:163], a[66:67], v[116:119]// 000000004040: D3F30074 1DD285A2
	v_mfma_f32_16x16x32_fp8_fp8 v[116:119], a[164:165], a[68:69], v[116:119]// 000000004048: D3F30074 1DD289A4
	v_mfma_f32_16x16x32_fp8_fp8 v[116:119], a[166:167], a[70:71], v[116:119]// 000000004050: D3F30074 1DD28DA6
	v_mfma_f32_16x16x32_fp8_fp8 v[136:139], a[168:169], a[64:65], v[136:139]// 000000004058: D3F30088 1E2281A8
	v_mfma_f32_16x16x32_fp8_fp8 v[136:139], a[170:171], a[66:67], v[136:139]// 000000004060: D3F30088 1E2285AA
	v_mfma_f32_16x16x32_fp8_fp8 v[136:139], a[172:173], a[68:69], v[136:139]// 000000004068: D3F30088 1E2289AC
	v_mfma_f32_16x16x32_fp8_fp8 v[136:139], a[174:175], a[70:71], v[136:139]// 000000004070: D3F30088 1E228DAE
	v_mfma_f32_16x16x32_fp8_fp8 v[80:83], a[144:145], a[72:73], v[80:83]// 000000004078: D3F30050 1D429190
	v_mfma_f32_16x16x32_fp8_fp8 v[80:83], a[146:147], a[74:75], v[80:83]// 000000004080: D3F30050 1D429592
	v_mfma_f32_16x16x32_fp8_fp8 v[80:83], a[148:149], a[76:77], v[80:83]// 000000004088: D3F30050 1D429994
	v_mfma_f32_16x16x32_fp8_fp8 v[80:83], a[150:151], a[78:79], v[80:83]// 000000004090: D3F30050 1D429D96
	v_mfma_f32_16x16x32_fp8_fp8 v[100:103], a[152:153], a[72:73], v[100:103]// 000000004098: D3F30064 1D929198
	v_mfma_f32_16x16x32_fp8_fp8 v[100:103], a[154:155], a[74:75], v[100:103]// 0000000040A0: D3F30064 1D92959A
	v_mfma_f32_16x16x32_fp8_fp8 v[100:103], a[156:157], a[76:77], v[100:103]// 0000000040A8: D3F30064 1D92999C
	v_mfma_f32_16x16x32_fp8_fp8 v[100:103], a[158:159], a[78:79], v[100:103]// 0000000040B0: D3F30064 1D929D9E
	v_mfma_f32_16x16x32_fp8_fp8 v[120:123], a[160:161], a[72:73], v[120:123]// 0000000040B8: D3F30078 1DE291A0
	v_mfma_f32_16x16x32_fp8_fp8 v[120:123], a[162:163], a[74:75], v[120:123]// 0000000040C0: D3F30078 1DE295A2
	v_mfma_f32_16x16x32_fp8_fp8 v[120:123], a[164:165], a[76:77], v[120:123]// 0000000040C8: D3F30078 1DE299A4
	v_mfma_f32_16x16x32_fp8_fp8 v[120:123], a[166:167], a[78:79], v[120:123]// 0000000040D0: D3F30078 1DE29DA6
	v_mfma_f32_16x16x32_fp8_fp8 v[140:143], a[168:169], a[72:73], v[140:143]// 0000000040D8: D3F3008C 1E3291A8
	v_mfma_f32_16x16x32_fp8_fp8 v[140:143], a[170:171], a[74:75], v[140:143]// 0000000040E0: D3F3008C 1E3295AA
	v_mfma_f32_16x16x32_fp8_fp8 v[140:143], a[172:173], a[76:77], v[140:143]// 0000000040E8: D3F3008C 1E3299AC
	v_mfma_f32_16x16x32_fp8_fp8 v[140:143], a[174:175], a[78:79], v[140:143]// 0000000040F0: D3F3008C 1E329DAE
	s_waitcnt vmcnt(18)                                        // 0000000040F8: BF8C4F72
	s_barrier                                                  // 0000000040FC: BF8A0000
	v_mfma_f32_16x16x32_fp8_fp8 v[144:147], a[80:81], a[40:41], v[144:147]// 000000004100: D3F30090 1E425150
	v_mfma_f32_16x16x32_fp8_fp8 v[144:147], a[82:83], a[42:43], v[144:147]// 000000004108: D3F30090 1E425552
	buffer_load_dwordx4 a[144:147], v60, s[84:87], 0 offen     // 000000004110: E05C1000 8095903C
	v_mfma_f32_16x16x32_fp8_fp8 v[144:147], a[84:85], a[44:45], v[144:147]// 000000004118: D3F30090 1E425954
	v_mfma_f32_16x16x32_fp8_fp8 v[144:147], a[86:87], a[46:47], v[144:147]// 000000004120: D3F30090 1E425D56
	ds_read_b128 a[0:3], v2 offset:20736                       // 000000004128: DBFE5100 00000002
	ds_read_b128 a[4:7], v2 offset:20800                       // 000000004130: DBFE5140 04000002
	v_mfma_f32_16x16x32_fp8_fp8 v[164:167], a[88:89], a[40:41], v[164:167]// 000000004138: D3F300A4 1E925158
	v_mfma_f32_16x16x32_fp8_fp8 v[164:167], a[90:91], a[42:43], v[164:167]// 000000004140: D3F300A4 1E92555A
	buffer_load_dwordx4 a[148:151], v60, s[84:87], 0 offen offset:1024// 000000004148: E05C1400 8095943C
	v_mfma_f32_16x16x32_fp8_fp8 v[164:167], a[92:93], a[44:45], v[164:167]// 000000004150: D3F300A4 1E92595C
	v_mfma_f32_16x16x32_fp8_fp8 v[164:167], a[94:95], a[46:47], v[164:167]// 000000004158: D3F300A4 1E925D5E
	ds_read_b128 a[8:11], v2 offset:21248                      // 000000004160: DBFE5300 08000002
	ds_read_b128 a[12:15], v2 offset:21312                     // 000000004168: DBFE5340 0C000002
	v_mfma_f32_16x16x32_fp8_fp8 v[184:187], a[96:97], a[40:41], v[184:187]// 000000004170: D3F300B8 1EE25160
	v_mfma_f32_16x16x32_fp8_fp8 v[184:187], a[98:99], a[42:43], v[184:187]// 000000004178: D3F300B8 1EE25562
	buffer_load_dwordx4 a[152:155], v61, s[84:87], 0 offen     // 000000004180: E05C1000 8095983D
	v_mfma_f32_16x16x32_fp8_fp8 v[184:187], a[100:101], a[44:45], v[184:187]// 000000004188: D3F300B8 1EE25964
	v_mfma_f32_16x16x32_fp8_fp8 v[184:187], a[102:103], a[46:47], v[184:187]// 000000004190: D3F300B8 1EE25D66
	ds_read_b128 a[16:19], v2 offset:21760                     // 000000004198: DBFE5500 10000002
	ds_read_b128 a[20:23], v2 offset:21824                     // 0000000041A0: DBFE5540 14000002
	v_mfma_f32_16x16x32_fp8_fp8 v[204:207], a[104:105], a[40:41], v[204:207]// 0000000041A8: D3F300CC 1F325168
	v_mfma_f32_16x16x32_fp8_fp8 v[204:207], a[106:107], a[42:43], v[204:207]// 0000000041B0: D3F300CC 1F32556A
	buffer_load_dwordx4 a[156:159], v61, s[84:87], 0 offen offset:1024// 0000000041B8: E05C1400 80959C3D
	v_mfma_f32_16x16x32_fp8_fp8 v[204:207], a[108:109], a[44:45], v[204:207]// 0000000041C0: D3F300CC 1F32596C
	v_mfma_f32_16x16x32_fp8_fp8 v[204:207], a[110:111], a[46:47], v[204:207]// 0000000041C8: D3F300CC 1F325D6E
	ds_read_b128 a[24:27], v2 offset:22272                     // 0000000041D0: DBFE5700 18000002
	ds_read_b128 a[28:31], v2 offset:22336                     // 0000000041D8: DBFE5740 1C000002
	v_mfma_f32_16x16x32_fp8_fp8 v[148:151], a[80:81], a[48:49], v[148:151]// 0000000041E0: D3F30094 1E526150
	v_mfma_f32_16x16x32_fp8_fp8 v[148:151], a[82:83], a[50:51], v[148:151]// 0000000041E8: D3F30094 1E526552
	buffer_load_dwordx4 a[160:163], v62, s[84:87], 0 offen     // 0000000041F0: E05C1000 8095A03E
	v_mfma_f32_16x16x32_fp8_fp8 v[148:151], a[84:85], a[52:53], v[148:151]// 0000000041F8: D3F30094 1E526954
	v_mfma_f32_16x16x32_fp8_fp8 v[148:151], a[86:87], a[54:55], v[148:151]// 000000004200: D3F30094 1E526D56
	ds_read_b128 a[32:35], v2 offset:22784                     // 000000004208: DBFE5900 20000002
	ds_read_b128 a[36:39], v2 offset:22848                     // 000000004210: DBFE5940 24000002
	v_mfma_f32_16x16x32_fp8_fp8 v[168:171], a[88:89], a[48:49], v[168:171]// 000000004218: D3F300A8 1EA26158
	v_mfma_f32_16x16x32_fp8_fp8 v[168:171], a[90:91], a[50:51], v[168:171]// 000000004220: D3F300A8 1EA2655A
	buffer_load_dwordx4 a[164:167], v62, s[84:87], 0 offen offset:1024// 000000004228: E05C1400 8095A43E
	v_mfma_f32_16x16x32_fp8_fp8 v[168:171], a[92:93], a[52:53], v[168:171]// 000000004230: D3F300A8 1EA2695C
	v_mfma_f32_16x16x32_fp8_fp8 v[168:171], a[94:95], a[54:55], v[168:171]// 000000004238: D3F300A8 1EA26D5E
	v_mfma_f32_16x16x32_fp8_fp8 v[188:191], a[96:97], a[48:49], v[188:191]// 000000004240: D3F300BC 1EF26160
	v_mfma_f32_16x16x32_fp8_fp8 v[188:191], a[98:99], a[50:51], v[188:191]// 000000004248: D3F300BC 1EF26562
	buffer_load_dwordx4 a[168:171], v63, s[84:87], 0 offen     // 000000004250: E05C1000 8095A83F
	v_mfma_f32_16x16x32_fp8_fp8 v[188:191], a[100:101], a[52:53], v[188:191]// 000000004258: D3F300BC 1EF26964
	v_mfma_f32_16x16x32_fp8_fp8 v[188:191], a[102:103], a[54:55], v[188:191]// 000000004260: D3F300BC 1EF26D66
	v_mfma_f32_16x16x32_fp8_fp8 v[208:211], a[104:105], a[48:49], v[208:211]// 000000004268: D3F300D0 1F426168
	v_mfma_f32_16x16x32_fp8_fp8 v[208:211], a[106:107], a[50:51], v[208:211]// 000000004270: D3F300D0 1F42656A
	buffer_load_dwordx4 a[172:175], v63, s[84:87], 0 offen offset:1024// 000000004278: E05C1400 8095AC3F
	v_mfma_f32_16x16x32_fp8_fp8 v[208:211], a[108:109], a[52:53], v[208:211]// 000000004280: D3F300D0 1F42696C
	v_mfma_f32_16x16x32_fp8_fp8 v[208:211], a[110:111], a[54:55], v[208:211]// 000000004288: D3F300D0 1F426D6E
	v_mfma_f32_16x16x32_fp8_fp8 v[152:155], a[80:81], a[56:57], v[152:155]// 000000004290: D3F30098 1E627150
	v_mfma_f32_16x16x32_fp8_fp8 v[152:155], a[82:83], a[58:59], v[152:155]// 000000004298: D3F30098 1E627552
	v_mfma_f32_16x16x32_fp8_fp8 v[152:155], a[84:85], a[60:61], v[152:155]// 0000000042A0: D3F30098 1E627954
	v_mfma_f32_16x16x32_fp8_fp8 v[152:155], a[86:87], a[62:63], v[152:155]// 0000000042A8: D3F30098 1E627D56
	v_mfma_f32_16x16x32_fp8_fp8 v[172:175], a[88:89], a[56:57], v[172:175]// 0000000042B0: D3F300AC 1EB27158
	v_mfma_f32_16x16x32_fp8_fp8 v[172:175], a[90:91], a[58:59], v[172:175]// 0000000042B8: D3F300AC 1EB2755A
	v_mfma_f32_16x16x32_fp8_fp8 v[172:175], a[92:93], a[60:61], v[172:175]// 0000000042C0: D3F300AC 1EB2795C
	v_mfma_f32_16x16x32_fp8_fp8 v[172:175], a[94:95], a[62:63], v[172:175]// 0000000042C8: D3F300AC 1EB27D5E
	v_mfma_f32_16x16x32_fp8_fp8 v[192:195], a[96:97], a[56:57], v[192:195]// 0000000042D0: D3F300C0 1F027160
	v_mfma_f32_16x16x32_fp8_fp8 v[192:195], a[98:99], a[58:59], v[192:195]// 0000000042D8: D3F300C0 1F027562
	v_mfma_f32_16x16x32_fp8_fp8 v[192:195], a[100:101], a[60:61], v[192:195]// 0000000042E0: D3F300C0 1F027964
	v_mfma_f32_16x16x32_fp8_fp8 v[192:195], a[102:103], a[62:63], v[192:195]// 0000000042E8: D3F300C0 1F027D66
	v_mfma_f32_16x16x32_fp8_fp8 v[212:215], a[104:105], a[56:57], v[212:215]// 0000000042F0: D3F300D4 1F527168
	v_mfma_f32_16x16x32_fp8_fp8 v[212:215], a[106:107], a[58:59], v[212:215]// 0000000042F8: D3F300D4 1F52756A
	v_mfma_f32_16x16x32_fp8_fp8 v[212:215], a[108:109], a[60:61], v[212:215]// 000000004300: D3F300D4 1F52796C
	v_mfma_f32_16x16x32_fp8_fp8 v[212:215], a[110:111], a[62:63], v[212:215]// 000000004308: D3F300D4 1F527D6E
	v_mfma_f32_16x16x32_fp8_fp8 v[156:159], a[80:81], a[64:65], v[156:159]// 000000004310: D3F3009C 1E728150
	v_mfma_f32_16x16x32_fp8_fp8 v[156:159], a[82:83], a[66:67], v[156:159]// 000000004318: D3F3009C 1E728552
	v_mfma_f32_16x16x32_fp8_fp8 v[156:159], a[84:85], a[68:69], v[156:159]// 000000004320: D3F3009C 1E728954
	v_mfma_f32_16x16x32_fp8_fp8 v[156:159], a[86:87], a[70:71], v[156:159]// 000000004328: D3F3009C 1E728D56
	v_mfma_f32_16x16x32_fp8_fp8 v[176:179], a[88:89], a[64:65], v[176:179]// 000000004330: D3F300B0 1EC28158
	v_mfma_f32_16x16x32_fp8_fp8 v[176:179], a[90:91], a[66:67], v[176:179]// 000000004338: D3F300B0 1EC2855A
	v_mfma_f32_16x16x32_fp8_fp8 v[176:179], a[92:93], a[68:69], v[176:179]// 000000004340: D3F300B0 1EC2895C
	v_mfma_f32_16x16x32_fp8_fp8 v[176:179], a[94:95], a[70:71], v[176:179]// 000000004348: D3F300B0 1EC28D5E
	v_mfma_f32_16x16x32_fp8_fp8 v[196:199], a[96:97], a[64:65], v[196:199]// 000000004350: D3F300C4 1F128160
	v_mfma_f32_16x16x32_fp8_fp8 v[196:199], a[98:99], a[66:67], v[196:199]// 000000004358: D3F300C4 1F128562
	v_mfma_f32_16x16x32_fp8_fp8 v[196:199], a[100:101], a[68:69], v[196:199]// 000000004360: D3F300C4 1F128964
	v_mfma_f32_16x16x32_fp8_fp8 v[196:199], a[102:103], a[70:71], v[196:199]// 000000004368: D3F300C4 1F128D66
	v_mfma_f32_16x16x32_fp8_fp8 v[216:219], a[104:105], a[64:65], v[216:219]// 000000004370: D3F300D8 1F628168
	v_mfma_f32_16x16x32_fp8_fp8 v[216:219], a[106:107], a[66:67], v[216:219]// 000000004378: D3F300D8 1F62856A
	v_mfma_f32_16x16x32_fp8_fp8 v[216:219], a[108:109], a[68:69], v[216:219]// 000000004380: D3F300D8 1F62896C
	v_mfma_f32_16x16x32_fp8_fp8 v[216:219], a[110:111], a[70:71], v[216:219]// 000000004388: D3F300D8 1F628D6E
	v_mfma_f32_16x16x32_fp8_fp8 v[160:163], a[80:81], a[72:73], v[160:163]// 000000004390: D3F300A0 1E829150
	v_mfma_f32_16x16x32_fp8_fp8 v[160:163], a[82:83], a[74:75], v[160:163]// 000000004398: D3F300A0 1E829552
	v_mfma_f32_16x16x32_fp8_fp8 v[160:163], a[84:85], a[76:77], v[160:163]// 0000000043A0: D3F300A0 1E829954
	v_mfma_f32_16x16x32_fp8_fp8 v[160:163], a[86:87], a[78:79], v[160:163]// 0000000043A8: D3F300A0 1E829D56
	v_mfma_f32_16x16x32_fp8_fp8 v[180:183], a[88:89], a[72:73], v[180:183]// 0000000043B0: D3F300B4 1ED29158
	v_mfma_f32_16x16x32_fp8_fp8 v[180:183], a[90:91], a[74:75], v[180:183]// 0000000043B8: D3F300B4 1ED2955A
	v_mfma_f32_16x16x32_fp8_fp8 v[180:183], a[92:93], a[76:77], v[180:183]// 0000000043C0: D3F300B4 1ED2995C
	v_mfma_f32_16x16x32_fp8_fp8 v[180:183], a[94:95], a[78:79], v[180:183]// 0000000043C8: D3F300B4 1ED29D5E
	v_mfma_f32_16x16x32_fp8_fp8 v[200:203], a[96:97], a[72:73], v[200:203]// 0000000043D0: D3F300C8 1F229160
	s_add_u32 s60, 0x180, s80                                  // 0000000043D8: 803C50FF 00000180
	s_cmp_lt_u32 s60, s81                                      // 0000000043E0: BF0A513C
	s_cselect_b32 s57, s57, 0                                  // 0000000043E4: 85398039
	v_mfma_f32_16x16x32_fp8_fp8 v[200:203], a[98:99], a[74:75], v[200:203]// 0000000043E8: D3F300C8 1F229562
	s_add_u32 s60, 0x100, s80                                  // 0000000043F0: 803C50FF 00000100
	s_cmp_lt_u32 s60, s81                                      // 0000000043F8: BF0A513C
	s_cselect_b32 s58, s58, 0                                  // 0000000043FC: 853A803A
	v_mfma_f32_16x16x32_fp8_fp8 v[200:203], a[100:101], a[76:77], v[200:203]// 000000004400: D3F300C8 1F229964
	s_add_u32 s60, 0x100, s80                                  // 000000004408: 803C50FF 00000100
	s_cmp_lt_u32 s60, s81                                      // 000000004410: BF0A513C
	s_cselect_b32 s83, s83, 0                                  // 000000004414: 85538053
	v_mfma_f32_16x16x32_fp8_fp8 v[200:203], a[102:103], a[78:79], v[200:203]// 000000004418: D3F300C8 1F229D66
	s_add_u32 s24, s58, s24                                    // 000000004420: 8018183A
	s_addc_u32 s25, 0, s25                                     // 000000004424: 82191980
	v_mfma_f32_16x16x32_fp8_fp8 v[220:223], a[104:105], a[72:73], v[220:223]// 000000004428: D3F300DC 1F729168
	s_add_u32 s20, s57, s20                                    // 000000004430: 80141439
	s_addc_u32 s21, 0, s21                                     // 000000004434: 82151580
	v_mfma_f32_16x16x32_fp8_fp8 v[220:223], a[106:107], a[74:75], v[220:223]// 000000004438: D3F300DC 1F72956A
	s_add_u32 s84, s83, s84                                    // 000000004440: 80545453
	s_addc_u32 s85, 0, s85                                     // 000000004444: 82555580
	v_mfma_f32_16x16x32_fp8_fp8 v[220:223], a[108:109], a[76:77], v[220:223]// 000000004448: D3F300DC 1F72996C
	v_mfma_f32_16x16x32_fp8_fp8 v[220:223], a[110:111], a[78:79], v[220:223]// 000000004450: D3F300DC 1F729D6E
	s_addk_i32 s80, 0x80                                       // 000000004458: B7500080
	s_cmp_lt_i32 s80, s81                                      // 00000000445C: BF045150
	s_cbranch_scc0 label_0D66                                  // 000000004460: BF8406CD
	s_waitcnt vmcnt(18) lgkmcnt(0)                             // 000000004464: BF8C4072
	v_mfma_f32_16x16x32_fp8_fp8 v[64:67], a[112:113], a[0:1], v[64:67]// 000000004468: D3F30040 1D020170
	v_mfma_f32_16x16x32_fp8_fp8 v[64:67], a[114:115], a[2:3], v[64:67]// 000000004470: D3F30040 1D020572
	buffer_load_dwordx4 a[80:83], v60, s[24:27], 0 offen       // 000000004478: E05C1000 8086503C
	v_mfma_f32_16x16x32_fp8_fp8 v[64:67], a[116:117], a[4:5], v[64:67]// 000000004480: D3F30040 1D020974
	v_mfma_f32_16x16x32_fp8_fp8 v[64:67], a[118:119], a[6:7], v[64:67]// 000000004488: D3F30040 1D020D76
	v_mfma_f32_16x16x32_fp8_fp8 v[84:87], a[120:121], a[0:1], v[84:87]// 000000004490: D3F30054 1D520178
	v_mfma_f32_16x16x32_fp8_fp8 v[84:87], a[122:123], a[2:3], v[84:87]// 000000004498: D3F30054 1D52057A
	buffer_load_dwordx4 a[84:87], v60, s[24:27], 0 offen offset:1024// 0000000044A0: E05C1400 8086543C
	v_mfma_f32_16x16x32_fp8_fp8 v[84:87], a[124:125], a[4:5], v[84:87]// 0000000044A8: D3F30054 1D52097C
	v_mfma_f32_16x16x32_fp8_fp8 v[84:87], a[126:127], a[6:7], v[84:87]// 0000000044B0: D3F30054 1D520D7E
	v_mfma_f32_16x16x32_fp8_fp8 v[104:107], a[128:129], a[0:1], v[104:107]// 0000000044B8: D3F30068 1DA20180
	v_mfma_f32_16x16x32_fp8_fp8 v[104:107], a[130:131], a[2:3], v[104:107]// 0000000044C0: D3F30068 1DA20582
	buffer_load_dwordx4 a[88:91], v61, s[24:27], 0 offen       // 0000000044C8: E05C1000 8086583D
	v_mfma_f32_16x16x32_fp8_fp8 v[104:107], a[132:133], a[4:5], v[104:107]// 0000000044D0: D3F30068 1DA20984
	v_mfma_f32_16x16x32_fp8_fp8 v[104:107], a[134:135], a[6:7], v[104:107]// 0000000044D8: D3F30068 1DA20D86
	v_mfma_f32_16x16x32_fp8_fp8 v[124:127], a[136:137], a[0:1], v[124:127]// 0000000044E0: D3F3007C 1DF20188
	v_mfma_f32_16x16x32_fp8_fp8 v[124:127], a[138:139], a[2:3], v[124:127]// 0000000044E8: D3F3007C 1DF2058A
	buffer_load_dwordx4 a[92:95], v61, s[24:27], 0 offen offset:1024// 0000000044F0: E05C1400 80865C3D
	v_mfma_f32_16x16x32_fp8_fp8 v[124:127], a[140:141], a[4:5], v[124:127]// 0000000044F8: D3F3007C 1DF2098C
	v_mfma_f32_16x16x32_fp8_fp8 v[124:127], a[142:143], a[6:7], v[124:127]// 000000004500: D3F3007C 1DF20D8E
	v_mfma_f32_16x16x32_fp8_fp8 v[68:71], a[112:113], a[8:9], v[68:71]// 000000004508: D3F30044 1D121170
	v_mfma_f32_16x16x32_fp8_fp8 v[68:71], a[114:115], a[10:11], v[68:71]// 000000004510: D3F30044 1D121572
	buffer_load_dwordx4 a[96:99], v62, s[24:27], 0 offen       // 000000004518: E05C1000 8086603E
	v_mfma_f32_16x16x32_fp8_fp8 v[68:71], a[116:117], a[12:13], v[68:71]// 000000004520: D3F30044 1D121974
	v_mfma_f32_16x16x32_fp8_fp8 v[68:71], a[118:119], a[14:15], v[68:71]// 000000004528: D3F30044 1D121D76
	v_mfma_f32_16x16x32_fp8_fp8 v[88:91], a[120:121], a[8:9], v[88:91]// 000000004530: D3F30058 1D621178
	v_mfma_f32_16x16x32_fp8_fp8 v[88:91], a[122:123], a[10:11], v[88:91]// 000000004538: D3F30058 1D62157A
	buffer_load_dwordx4 a[100:103], v62, s[24:27], 0 offen offset:1024// 000000004540: E05C1400 8086643E
	v_mfma_f32_16x16x32_fp8_fp8 v[88:91], a[124:125], a[12:13], v[88:91]// 000000004548: D3F30058 1D62197C
	v_mfma_f32_16x16x32_fp8_fp8 v[88:91], a[126:127], a[14:15], v[88:91]// 000000004550: D3F30058 1D621D7E
	v_mfma_f32_16x16x32_fp8_fp8 v[108:111], a[128:129], a[8:9], v[108:111]// 000000004558: D3F3006C 1DB21180
	v_mfma_f32_16x16x32_fp8_fp8 v[108:111], a[130:131], a[10:11], v[108:111]// 000000004560: D3F3006C 1DB21582
	buffer_load_dwordx4 a[104:107], v63, s[24:27], 0 offen     // 000000004568: E05C1000 8086683F
	v_mfma_f32_16x16x32_fp8_fp8 v[108:111], a[132:133], a[12:13], v[108:111]// 000000004570: D3F3006C 1DB21984
	v_mfma_f32_16x16x32_fp8_fp8 v[108:111], a[134:135], a[14:15], v[108:111]// 000000004578: D3F3006C 1DB21D86
	v_mfma_f32_16x16x32_fp8_fp8 v[128:131], a[136:137], a[8:9], v[128:131]// 000000004580: D3F30080 1E021188
	v_mfma_f32_16x16x32_fp8_fp8 v[128:131], a[138:139], a[10:11], v[128:131]// 000000004588: D3F30080 1E02158A
	buffer_load_dwordx4 a[108:111], v63, s[24:27], 0 offen offset:1024// 000000004590: E05C1400 80866C3F
	buffer_load_dword v50, s[20:23], 0 offen lds               // 000000004598: E0511000 80050032
	s_add_u32 m0, 0x100, s49                                   // 0000000045A0: 807C31FF 00000100
	v_mfma_f32_16x16x32_fp8_fp8 v[128:131], a[140:141], a[12:13], v[128:131]// 0000000045A8: D3F30080 1E02198C
	v_mfma_f32_16x16x32_fp8_fp8 v[128:131], a[142:143], a[14:15], v[128:131]// 0000000045B0: D3F30080 1E021D8E
	buffer_load_dword v51, s[20:23], 0 offen lds               // 0000000045B8: E0511000 80050033
	s_add_u32 m0, 0x200, s49                                   // 0000000045C0: 807C31FF 00000200
	v_mfma_f32_16x16x32_fp8_fp8 v[72:75], a[112:113], a[16:17], v[72:75]// 0000000045C8: D3F30048 1D222170
	v_mfma_f32_16x16x32_fp8_fp8 v[72:75], a[114:115], a[18:19], v[72:75]// 0000000045D0: D3F30048 1D222572
	buffer_load_dword v52, s[20:23], 0 offen lds               // 0000000045D8: E0511000 80050034
	s_add_u32 m0, 0x300, s49                                   // 0000000045E0: 807C31FF 00000300
	v_mfma_f32_16x16x32_fp8_fp8 v[72:75], a[116:117], a[20:21], v[72:75]// 0000000045E8: D3F30048 1D222974
	v_mfma_f32_16x16x32_fp8_fp8 v[72:75], a[118:119], a[22:23], v[72:75]// 0000000045F0: D3F30048 1D222D76
	buffer_load_dword v53, s[20:23], 0 offen lds               // 0000000045F8: E0511000 80050035
	s_add_u32 m0, 0x400, s49                                   // 000000004600: 807C31FF 00000400
	v_mfma_f32_16x16x32_fp8_fp8 v[92:95], a[120:121], a[16:17], v[92:95]// 000000004608: D3F3005C 1D722178
	v_mfma_f32_16x16x32_fp8_fp8 v[92:95], a[122:123], a[18:19], v[92:95]// 000000004610: D3F3005C 1D72257A
	buffer_load_dword v54, s[20:23], 0 offen lds               // 000000004618: E0511000 80050036
	s_add_u32 m0, 0x500, s49                                   // 000000004620: 807C31FF 00000500
	v_mfma_f32_16x16x32_fp8_fp8 v[92:95], a[124:125], a[20:21], v[92:95]// 000000004628: D3F3005C 1D72297C
	v_mfma_f32_16x16x32_fp8_fp8 v[92:95], a[126:127], a[22:23], v[92:95]// 000000004630: D3F3005C 1D722D7E
	buffer_load_dword v55, s[20:23], 0 offen lds               // 000000004638: E0511000 80050037
	s_add_u32 m0, 0x600, s49                                   // 000000004640: 807C31FF 00000600
	v_mfma_f32_16x16x32_fp8_fp8 v[112:115], a[128:129], a[16:17], v[112:115]// 000000004648: D3F30070 1DC22180
	v_mfma_f32_16x16x32_fp8_fp8 v[112:115], a[130:131], a[18:19], v[112:115]// 000000004650: D3F30070 1DC22582
	buffer_load_dword v56, s[20:23], 0 offen lds               // 000000004658: E0511000 80050038
	s_add_u32 m0, 0x700, s49                                   // 000000004660: 807C31FF 00000700
	v_mfma_f32_16x16x32_fp8_fp8 v[112:115], a[132:133], a[20:21], v[112:115]// 000000004668: D3F30070 1DC22984
	v_mfma_f32_16x16x32_fp8_fp8 v[112:115], a[134:135], a[22:23], v[112:115]// 000000004670: D3F30070 1DC22D86
	buffer_load_dword v57, s[20:23], 0 offen lds               // 000000004678: E0511000 80050039
	s_add_u32 m0, 0x800, s49                                   // 000000004680: 807C31FF 00000800
	v_mfma_f32_16x16x32_fp8_fp8 v[132:135], a[136:137], a[16:17], v[132:135]// 000000004688: D3F30084 1E122188
	v_mfma_f32_16x16x32_fp8_fp8 v[132:135], a[138:139], a[18:19], v[132:135]// 000000004690: D3F30084 1E12258A
	buffer_load_dword v58, s[20:23], 0 offen lds               // 000000004698: E0511000 8005003A
	s_add_u32 m0, 0x900, s49                                   // 0000000046A0: 807C31FF 00000900
	v_mfma_f32_16x16x32_fp8_fp8 v[132:135], a[140:141], a[20:21], v[132:135]// 0000000046A8: D3F30084 1E12298C
	v_mfma_f32_16x16x32_fp8_fp8 v[132:135], a[142:143], a[22:23], v[132:135]// 0000000046B0: D3F30084 1E122D8E
	buffer_load_dword v59, s[20:23], 0 offen lds               // 0000000046B8: E0511000 8005003B
	s_add_u32 m0, 0, s50                                       // 0000000046C0: 807C3280
	v_mfma_f32_16x16x32_fp8_fp8 v[76:79], a[112:113], a[24:25], v[76:79]// 0000000046C4: D3F3004C 1D323170
	v_mfma_f32_16x16x32_fp8_fp8 v[76:79], a[114:115], a[26:27], v[76:79]// 0000000046CC: D3F3004C 1D323572
	v_mfma_f32_16x16x32_fp8_fp8 v[76:79], a[116:117], a[28:29], v[76:79]// 0000000046D4: D3F3004C 1D323974
	v_mfma_f32_16x16x32_fp8_fp8 v[76:79], a[118:119], a[30:31], v[76:79]// 0000000046DC: D3F3004C 1D323D76
	v_mfma_f32_16x16x32_fp8_fp8 v[96:99], a[120:121], a[24:25], v[96:99]// 0000000046E4: D3F30060 1D823178
	v_mfma_f32_16x16x32_fp8_fp8 v[96:99], a[122:123], a[26:27], v[96:99]// 0000000046EC: D3F30060 1D82357A
	v_mfma_f32_16x16x32_fp8_fp8 v[96:99], a[124:125], a[28:29], v[96:99]// 0000000046F4: D3F30060 1D82397C
	v_mfma_f32_16x16x32_fp8_fp8 v[96:99], a[126:127], a[30:31], v[96:99]// 0000000046FC: D3F30060 1D823D7E
	v_mfma_f32_16x16x32_fp8_fp8 v[116:119], a[128:129], a[24:25], v[116:119]// 000000004704: D3F30074 1DD23180
	v_mfma_f32_16x16x32_fp8_fp8 v[116:119], a[130:131], a[26:27], v[116:119]// 00000000470C: D3F30074 1DD23582
	v_mfma_f32_16x16x32_fp8_fp8 v[116:119], a[132:133], a[28:29], v[116:119]// 000000004714: D3F30074 1DD23984
	v_mfma_f32_16x16x32_fp8_fp8 v[116:119], a[134:135], a[30:31], v[116:119]// 00000000471C: D3F30074 1DD23D86
	v_mfma_f32_16x16x32_fp8_fp8 v[136:139], a[136:137], a[24:25], v[136:139]// 000000004724: D3F30088 1E223188
	v_mfma_f32_16x16x32_fp8_fp8 v[136:139], a[138:139], a[26:27], v[136:139]// 00000000472C: D3F30088 1E22358A
	v_mfma_f32_16x16x32_fp8_fp8 v[136:139], a[140:141], a[28:29], v[136:139]// 000000004734: D3F30088 1E22398C
	v_mfma_f32_16x16x32_fp8_fp8 v[136:139], a[142:143], a[30:31], v[136:139]// 00000000473C: D3F30088 1E223D8E
	v_mfma_f32_16x16x32_fp8_fp8 v[80:83], a[112:113], a[32:33], v[80:83]// 000000004744: D3F30050 1D424170
	v_mfma_f32_16x16x32_fp8_fp8 v[80:83], a[114:115], a[34:35], v[80:83]// 00000000474C: D3F30050 1D424572
	v_mfma_f32_16x16x32_fp8_fp8 v[80:83], a[116:117], a[36:37], v[80:83]// 000000004754: D3F30050 1D424974
	v_mfma_f32_16x16x32_fp8_fp8 v[80:83], a[118:119], a[38:39], v[80:83]// 00000000475C: D3F30050 1D424D76
	v_mfma_f32_16x16x32_fp8_fp8 v[100:103], a[120:121], a[32:33], v[100:103]// 000000004764: D3F30064 1D924178
	v_mfma_f32_16x16x32_fp8_fp8 v[100:103], a[122:123], a[34:35], v[100:103]// 00000000476C: D3F30064 1D92457A
	v_mfma_f32_16x16x32_fp8_fp8 v[100:103], a[124:125], a[36:37], v[100:103]// 000000004774: D3F30064 1D92497C
	v_mfma_f32_16x16x32_fp8_fp8 v[100:103], a[126:127], a[38:39], v[100:103]// 00000000477C: D3F30064 1D924D7E
	v_mfma_f32_16x16x32_fp8_fp8 v[120:123], a[128:129], a[32:33], v[120:123]// 000000004784: D3F30078 1DE24180
	v_mfma_f32_16x16x32_fp8_fp8 v[120:123], a[130:131], a[34:35], v[120:123]// 00000000478C: D3F30078 1DE24582
	v_mfma_f32_16x16x32_fp8_fp8 v[120:123], a[132:133], a[36:37], v[120:123]// 000000004794: D3F30078 1DE24984
	v_mfma_f32_16x16x32_fp8_fp8 v[120:123], a[134:135], a[38:39], v[120:123]// 00000000479C: D3F30078 1DE24D86
	v_mfma_f32_16x16x32_fp8_fp8 v[140:143], a[136:137], a[32:33], v[140:143]// 0000000047A4: D3F3008C 1E324188
	v_mfma_f32_16x16x32_fp8_fp8 v[140:143], a[138:139], a[34:35], v[140:143]// 0000000047AC: D3F3008C 1E32458A
	v_mfma_f32_16x16x32_fp8_fp8 v[140:143], a[140:141], a[36:37], v[140:143]// 0000000047B4: D3F3008C 1E32498C
	v_mfma_f32_16x16x32_fp8_fp8 v[140:143], a[142:143], a[38:39], v[140:143]// 0000000047BC: D3F3008C 1E324D8E
	s_waitcnt vmcnt(18)                                        // 0000000047C4: BF8C4F72
	s_barrier                                                  // 0000000047C8: BF8A0000
	v_mfma_f32_16x16x32_fp8_fp8 v[144:147], a[144:145], a[0:1], v[144:147]// 0000000047CC: D3F30090 1E420190
	v_mfma_f32_16x16x32_fp8_fp8 v[144:147], a[146:147], a[2:3], v[144:147]// 0000000047D4: D3F30090 1E420592
	buffer_load_dwordx4 a[112:115], v60, s[84:87], 0 offen     // 0000000047DC: E05C1000 8095703C
	v_mfma_f32_16x16x32_fp8_fp8 v[144:147], a[148:149], a[4:5], v[144:147]// 0000000047E4: D3F30090 1E420994
	v_mfma_f32_16x16x32_fp8_fp8 v[144:147], a[150:151], a[6:7], v[144:147]// 0000000047EC: D3F30090 1E420D96
	ds_read_b128 a[40:43], v2                                  // 0000000047F4: DBFE0000 28000002
	ds_read_b128 a[44:47], v2 offset:64                        // 0000000047FC: DBFE0040 2C000002
	v_mfma_f32_16x16x32_fp8_fp8 v[164:167], a[152:153], a[0:1], v[164:167]// 000000004804: D3F300A4 1E920198
	v_mfma_f32_16x16x32_fp8_fp8 v[164:167], a[154:155], a[2:3], v[164:167]// 00000000480C: D3F300A4 1E92059A
	buffer_load_dwordx4 a[116:119], v60, s[84:87], 0 offen offset:1024// 000000004814: E05C1400 8095743C
	v_mfma_f32_16x16x32_fp8_fp8 v[164:167], a[156:157], a[4:5], v[164:167]// 00000000481C: D3F300A4 1E92099C
	v_mfma_f32_16x16x32_fp8_fp8 v[164:167], a[158:159], a[6:7], v[164:167]// 000000004824: D3F300A4 1E920D9E
	ds_read_b128 a[48:51], v2 offset:512                       // 00000000482C: DBFE0200 30000002
	ds_read_b128 a[52:55], v2 offset:576                       // 000000004834: DBFE0240 34000002
	v_mfma_f32_16x16x32_fp8_fp8 v[184:187], a[160:161], a[0:1], v[184:187]// 00000000483C: D3F300B8 1EE201A0
	v_mfma_f32_16x16x32_fp8_fp8 v[184:187], a[162:163], a[2:3], v[184:187]// 000000004844: D3F300B8 1EE205A2
	buffer_load_dwordx4 a[120:123], v61, s[84:87], 0 offen     // 00000000484C: E05C1000 8095783D
	v_mfma_f32_16x16x32_fp8_fp8 v[184:187], a[164:165], a[4:5], v[184:187]// 000000004854: D3F300B8 1EE209A4
	v_mfma_f32_16x16x32_fp8_fp8 v[184:187], a[166:167], a[6:7], v[184:187]// 00000000485C: D3F300B8 1EE20DA6
	ds_read_b128 a[56:59], v2 offset:1024                      // 000000004864: DBFE0400 38000002
	ds_read_b128 a[60:63], v2 offset:1088                      // 00000000486C: DBFE0440 3C000002
	v_mfma_f32_16x16x32_fp8_fp8 v[204:207], a[168:169], a[0:1], v[204:207]// 000000004874: D3F300CC 1F3201A8
	v_mfma_f32_16x16x32_fp8_fp8 v[204:207], a[170:171], a[2:3], v[204:207]// 00000000487C: D3F300CC 1F3205AA
	buffer_load_dwordx4 a[124:127], v61, s[84:87], 0 offen offset:1024// 000000004884: E05C1400 80957C3D
	v_mfma_f32_16x16x32_fp8_fp8 v[204:207], a[172:173], a[4:5], v[204:207]// 00000000488C: D3F300CC 1F3209AC
	v_mfma_f32_16x16x32_fp8_fp8 v[204:207], a[174:175], a[6:7], v[204:207]// 000000004894: D3F300CC 1F320DAE
	ds_read_b128 a[64:67], v2 offset:1536                      // 00000000489C: DBFE0600 40000002
	ds_read_b128 a[68:71], v2 offset:1600                      // 0000000048A4: DBFE0640 44000002
	v_mfma_f32_16x16x32_fp8_fp8 v[148:151], a[144:145], a[8:9], v[148:151]// 0000000048AC: D3F30094 1E521190
	v_mfma_f32_16x16x32_fp8_fp8 v[148:151], a[146:147], a[10:11], v[148:151]// 0000000048B4: D3F30094 1E521592
	buffer_load_dwordx4 a[128:131], v62, s[84:87], 0 offen     // 0000000048BC: E05C1000 8095803E
	v_mfma_f32_16x16x32_fp8_fp8 v[148:151], a[148:149], a[12:13], v[148:151]// 0000000048C4: D3F30094 1E521994
	v_mfma_f32_16x16x32_fp8_fp8 v[148:151], a[150:151], a[14:15], v[148:151]// 0000000048CC: D3F30094 1E521D96
	ds_read_b128 a[72:75], v2 offset:2048                      // 0000000048D4: DBFE0800 48000002
	ds_read_b128 a[76:79], v2 offset:2112                      // 0000000048DC: DBFE0840 4C000002
	v_mfma_f32_16x16x32_fp8_fp8 v[168:171], a[152:153], a[8:9], v[168:171]// 0000000048E4: D3F300A8 1EA21198
	v_mfma_f32_16x16x32_fp8_fp8 v[168:171], a[154:155], a[10:11], v[168:171]// 0000000048EC: D3F300A8 1EA2159A
	buffer_load_dwordx4 a[132:135], v62, s[84:87], 0 offen offset:1024// 0000000048F4: E05C1400 8095843E
	v_mfma_f32_16x16x32_fp8_fp8 v[168:171], a[156:157], a[12:13], v[168:171]// 0000000048FC: D3F300A8 1EA2199C
	v_mfma_f32_16x16x32_fp8_fp8 v[168:171], a[158:159], a[14:15], v[168:171]// 000000004904: D3F300A8 1EA21D9E
	v_mfma_f32_16x16x32_fp8_fp8 v[188:191], a[160:161], a[8:9], v[188:191]// 00000000490C: D3F300BC 1EF211A0
	v_mfma_f32_16x16x32_fp8_fp8 v[188:191], a[162:163], a[10:11], v[188:191]// 000000004914: D3F300BC 1EF215A2
	buffer_load_dwordx4 a[136:139], v63, s[84:87], 0 offen     // 00000000491C: E05C1000 8095883F
	v_mfma_f32_16x16x32_fp8_fp8 v[188:191], a[164:165], a[12:13], v[188:191]// 000000004924: D3F300BC 1EF219A4
	v_mfma_f32_16x16x32_fp8_fp8 v[188:191], a[166:167], a[14:15], v[188:191]// 00000000492C: D3F300BC 1EF21DA6
	v_mfma_f32_16x16x32_fp8_fp8 v[208:211], a[168:169], a[8:9], v[208:211]// 000000004934: D3F300D0 1F4211A8
	v_mfma_f32_16x16x32_fp8_fp8 v[208:211], a[170:171], a[10:11], v[208:211]// 00000000493C: D3F300D0 1F4215AA
	buffer_load_dwordx4 a[140:143], v63, s[84:87], 0 offen offset:1024// 000000004944: E05C1400 80958C3F
	v_mfma_f32_16x16x32_fp8_fp8 v[208:211], a[172:173], a[12:13], v[208:211]// 00000000494C: D3F300D0 1F4219AC
	v_mfma_f32_16x16x32_fp8_fp8 v[208:211], a[174:175], a[14:15], v[208:211]// 000000004954: D3F300D0 1F421DAE
	v_mfma_f32_16x16x32_fp8_fp8 v[152:155], a[144:145], a[16:17], v[152:155]// 00000000495C: D3F30098 1E622190
	v_mfma_f32_16x16x32_fp8_fp8 v[152:155], a[146:147], a[18:19], v[152:155]// 000000004964: D3F30098 1E622592
	v_mfma_f32_16x16x32_fp8_fp8 v[152:155], a[148:149], a[20:21], v[152:155]// 00000000496C: D3F30098 1E622994
	v_mfma_f32_16x16x32_fp8_fp8 v[152:155], a[150:151], a[22:23], v[152:155]// 000000004974: D3F30098 1E622D96
	v_mfma_f32_16x16x32_fp8_fp8 v[172:175], a[152:153], a[16:17], v[172:175]// 00000000497C: D3F300AC 1EB22198
	v_mfma_f32_16x16x32_fp8_fp8 v[172:175], a[154:155], a[18:19], v[172:175]// 000000004984: D3F300AC 1EB2259A
	v_mfma_f32_16x16x32_fp8_fp8 v[172:175], a[156:157], a[20:21], v[172:175]// 00000000498C: D3F300AC 1EB2299C
	v_mfma_f32_16x16x32_fp8_fp8 v[172:175], a[158:159], a[22:23], v[172:175]// 000000004994: D3F300AC 1EB22D9E
	v_mfma_f32_16x16x32_fp8_fp8 v[192:195], a[160:161], a[16:17], v[192:195]// 00000000499C: D3F300C0 1F0221A0
	v_mfma_f32_16x16x32_fp8_fp8 v[192:195], a[162:163], a[18:19], v[192:195]// 0000000049A4: D3F300C0 1F0225A2
	v_mfma_f32_16x16x32_fp8_fp8 v[192:195], a[164:165], a[20:21], v[192:195]// 0000000049AC: D3F300C0 1F0229A4
	v_mfma_f32_16x16x32_fp8_fp8 v[192:195], a[166:167], a[22:23], v[192:195]// 0000000049B4: D3F300C0 1F022DA6
	v_mfma_f32_16x16x32_fp8_fp8 v[212:215], a[168:169], a[16:17], v[212:215]// 0000000049BC: D3F300D4 1F5221A8
	v_mfma_f32_16x16x32_fp8_fp8 v[212:215], a[170:171], a[18:19], v[212:215]// 0000000049C4: D3F300D4 1F5225AA
	v_mfma_f32_16x16x32_fp8_fp8 v[212:215], a[172:173], a[20:21], v[212:215]// 0000000049CC: D3F300D4 1F5229AC
	v_mfma_f32_16x16x32_fp8_fp8 v[212:215], a[174:175], a[22:23], v[212:215]// 0000000049D4: D3F300D4 1F522DAE
	v_mfma_f32_16x16x32_fp8_fp8 v[156:159], a[144:145], a[24:25], v[156:159]// 0000000049DC: D3F3009C 1E723190
	v_mfma_f32_16x16x32_fp8_fp8 v[156:159], a[146:147], a[26:27], v[156:159]// 0000000049E4: D3F3009C 1E723592
	v_mfma_f32_16x16x32_fp8_fp8 v[156:159], a[148:149], a[28:29], v[156:159]// 0000000049EC: D3F3009C 1E723994
	v_mfma_f32_16x16x32_fp8_fp8 v[156:159], a[150:151], a[30:31], v[156:159]// 0000000049F4: D3F3009C 1E723D96
	v_mfma_f32_16x16x32_fp8_fp8 v[176:179], a[152:153], a[24:25], v[176:179]// 0000000049FC: D3F300B0 1EC23198
	v_mfma_f32_16x16x32_fp8_fp8 v[176:179], a[154:155], a[26:27], v[176:179]// 000000004A04: D3F300B0 1EC2359A
	v_mfma_f32_16x16x32_fp8_fp8 v[176:179], a[156:157], a[28:29], v[176:179]// 000000004A0C: D3F300B0 1EC2399C
	v_mfma_f32_16x16x32_fp8_fp8 v[176:179], a[158:159], a[30:31], v[176:179]// 000000004A14: D3F300B0 1EC23D9E
	v_mfma_f32_16x16x32_fp8_fp8 v[196:199], a[160:161], a[24:25], v[196:199]// 000000004A1C: D3F300C4 1F1231A0
	v_mfma_f32_16x16x32_fp8_fp8 v[196:199], a[162:163], a[26:27], v[196:199]// 000000004A24: D3F300C4 1F1235A2
	v_mfma_f32_16x16x32_fp8_fp8 v[196:199], a[164:165], a[28:29], v[196:199]// 000000004A2C: D3F300C4 1F1239A4
	v_mfma_f32_16x16x32_fp8_fp8 v[196:199], a[166:167], a[30:31], v[196:199]// 000000004A34: D3F300C4 1F123DA6
	v_mfma_f32_16x16x32_fp8_fp8 v[216:219], a[168:169], a[24:25], v[216:219]// 000000004A3C: D3F300D8 1F6231A8
	v_mfma_f32_16x16x32_fp8_fp8 v[216:219], a[170:171], a[26:27], v[216:219]// 000000004A44: D3F300D8 1F6235AA
	v_mfma_f32_16x16x32_fp8_fp8 v[216:219], a[172:173], a[28:29], v[216:219]// 000000004A4C: D3F300D8 1F6239AC
	v_mfma_f32_16x16x32_fp8_fp8 v[216:219], a[174:175], a[30:31], v[216:219]// 000000004A54: D3F300D8 1F623DAE
	v_mfma_f32_16x16x32_fp8_fp8 v[160:163], a[144:145], a[32:33], v[160:163]// 000000004A5C: D3F300A0 1E824190
	v_mfma_f32_16x16x32_fp8_fp8 v[160:163], a[146:147], a[34:35], v[160:163]// 000000004A64: D3F300A0 1E824592
	v_mfma_f32_16x16x32_fp8_fp8 v[160:163], a[148:149], a[36:37], v[160:163]// 000000004A6C: D3F300A0 1E824994
	v_mfma_f32_16x16x32_fp8_fp8 v[160:163], a[150:151], a[38:39], v[160:163]// 000000004A74: D3F300A0 1E824D96
	v_mfma_f32_16x16x32_fp8_fp8 v[180:183], a[152:153], a[32:33], v[180:183]// 000000004A7C: D3F300B4 1ED24198
	v_mfma_f32_16x16x32_fp8_fp8 v[180:183], a[154:155], a[34:35], v[180:183]// 000000004A84: D3F300B4 1ED2459A
	v_mfma_f32_16x16x32_fp8_fp8 v[180:183], a[156:157], a[36:37], v[180:183]// 000000004A8C: D3F300B4 1ED2499C
	v_mfma_f32_16x16x32_fp8_fp8 v[180:183], a[158:159], a[38:39], v[180:183]// 000000004A94: D3F300B4 1ED24D9E
	v_mfma_f32_16x16x32_fp8_fp8 v[200:203], a[160:161], a[32:33], v[200:203]// 000000004A9C: D3F300C8 1F2241A0
	s_add_u32 s60, 0x180, s80                                  // 000000004AA4: 803C50FF 00000180
	s_cmp_lt_u32 s60, s81                                      // 000000004AAC: BF0A513C
	s_cselect_b32 s57, s57, 0                                  // 000000004AB0: 85398039
	v_mfma_f32_16x16x32_fp8_fp8 v[200:203], a[162:163], a[34:35], v[200:203]// 000000004AB4: D3F300C8 1F2245A2
	s_add_u32 s60, 0x100, s80                                  // 000000004ABC: 803C50FF 00000100
	s_cmp_lt_u32 s60, s81                                      // 000000004AC4: BF0A513C
	s_cselect_b32 s58, s58, 0                                  // 000000004AC8: 853A803A
	v_mfma_f32_16x16x32_fp8_fp8 v[200:203], a[164:165], a[36:37], v[200:203]// 000000004ACC: D3F300C8 1F2249A4
	s_add_u32 s60, 0x100, s80                                  // 000000004AD4: 803C50FF 00000100
	s_cmp_lt_u32 s60, s81                                      // 000000004ADC: BF0A513C
	s_cselect_b32 s83, s83, 0                                  // 000000004AE0: 85538053
	v_mfma_f32_16x16x32_fp8_fp8 v[200:203], a[166:167], a[38:39], v[200:203]// 000000004AE4: D3F300C8 1F224DA6
	s_add_u32 s24, s58, s24                                    // 000000004AEC: 8018183A
	s_addc_u32 s25, 0, s25                                     // 000000004AF0: 82191980
	v_mfma_f32_16x16x32_fp8_fp8 v[220:223], a[168:169], a[32:33], v[220:223]// 000000004AF4: D3F300DC 1F7241A8
	s_add_u32 s20, s57, s20                                    // 000000004AFC: 80141439
	s_addc_u32 s21, 0, s21                                     // 000000004B00: 82151580
	v_mfma_f32_16x16x32_fp8_fp8 v[220:223], a[170:171], a[34:35], v[220:223]// 000000004B04: D3F300DC 1F7245AA
	s_add_u32 s84, s83, s84                                    // 000000004B0C: 80545453
	s_addc_u32 s85, 0, s85                                     // 000000004B10: 82555580
	v_mfma_f32_16x16x32_fp8_fp8 v[220:223], a[172:173], a[36:37], v[220:223]// 000000004B14: D3F300DC 1F7249AC
	v_mfma_f32_16x16x32_fp8_fp8 v[220:223], a[174:175], a[38:39], v[220:223]// 000000004B1C: D3F300DC 1F724DAE
	s_addk_i32 s80, 0x80                                       // 000000004B24: B7500080
	s_cmp_lt_i32 s80, s81                                      // 000000004B28: BF045150
	s_cbranch_scc0 label_0D66                                  // 000000004B2C: BF84051A
	s_waitcnt vmcnt(18) lgkmcnt(0)                             // 000000004B30: BF8C4072
	v_mfma_f32_16x16x32_fp8_fp8 v[64:67], a[80:81], a[40:41], v[64:67]// 000000004B34: D3F30040 1D025150
	v_mfma_f32_16x16x32_fp8_fp8 v[64:67], a[82:83], a[42:43], v[64:67]// 000000004B3C: D3F30040 1D025552
	buffer_load_dwordx4 a[144:147], v60, s[24:27], 0 offen     // 000000004B44: E05C1000 8086903C
	v_mfma_f32_16x16x32_fp8_fp8 v[64:67], a[84:85], a[44:45], v[64:67]// 000000004B4C: D3F30040 1D025954
	v_mfma_f32_16x16x32_fp8_fp8 v[64:67], a[86:87], a[46:47], v[64:67]// 000000004B54: D3F30040 1D025D56
	v_mfma_f32_16x16x32_fp8_fp8 v[84:87], a[88:89], a[40:41], v[84:87]// 000000004B5C: D3F30054 1D525158
	v_mfma_f32_16x16x32_fp8_fp8 v[84:87], a[90:91], a[42:43], v[84:87]// 000000004B64: D3F30054 1D52555A
	buffer_load_dwordx4 a[148:151], v60, s[24:27], 0 offen offset:1024// 000000004B6C: E05C1400 8086943C
	v_mfma_f32_16x16x32_fp8_fp8 v[84:87], a[92:93], a[44:45], v[84:87]// 000000004B74: D3F30054 1D52595C
	v_mfma_f32_16x16x32_fp8_fp8 v[84:87], a[94:95], a[46:47], v[84:87]// 000000004B7C: D3F30054 1D525D5E
	v_mfma_f32_16x16x32_fp8_fp8 v[104:107], a[96:97], a[40:41], v[104:107]// 000000004B84: D3F30068 1DA25160
	v_mfma_f32_16x16x32_fp8_fp8 v[104:107], a[98:99], a[42:43], v[104:107]// 000000004B8C: D3F30068 1DA25562
	buffer_load_dwordx4 a[152:155], v61, s[24:27], 0 offen     // 000000004B94: E05C1000 8086983D
	v_mfma_f32_16x16x32_fp8_fp8 v[104:107], a[100:101], a[44:45], v[104:107]// 000000004B9C: D3F30068 1DA25964
	v_mfma_f32_16x16x32_fp8_fp8 v[104:107], a[102:103], a[46:47], v[104:107]// 000000004BA4: D3F30068 1DA25D66
	v_mfma_f32_16x16x32_fp8_fp8 v[124:127], a[104:105], a[40:41], v[124:127]// 000000004BAC: D3F3007C 1DF25168
	v_mfma_f32_16x16x32_fp8_fp8 v[124:127], a[106:107], a[42:43], v[124:127]// 000000004BB4: D3F3007C 1DF2556A
	buffer_load_dwordx4 a[156:159], v61, s[24:27], 0 offen offset:1024// 000000004BBC: E05C1400 80869C3D
	v_mfma_f32_16x16x32_fp8_fp8 v[124:127], a[108:109], a[44:45], v[124:127]// 000000004BC4: D3F3007C 1DF2596C
	v_mfma_f32_16x16x32_fp8_fp8 v[124:127], a[110:111], a[46:47], v[124:127]// 000000004BCC: D3F3007C 1DF25D6E
	v_mfma_f32_16x16x32_fp8_fp8 v[68:71], a[80:81], a[48:49], v[68:71]// 000000004BD4: D3F30044 1D126150
	v_mfma_f32_16x16x32_fp8_fp8 v[68:71], a[82:83], a[50:51], v[68:71]// 000000004BDC: D3F30044 1D126552
	buffer_load_dwordx4 a[160:163], v62, s[24:27], 0 offen     // 000000004BE4: E05C1000 8086A03E
	v_mfma_f32_16x16x32_fp8_fp8 v[68:71], a[84:85], a[52:53], v[68:71]// 000000004BEC: D3F30044 1D126954
	v_mfma_f32_16x16x32_fp8_fp8 v[68:71], a[86:87], a[54:55], v[68:71]// 000000004BF4: D3F30044 1D126D56
	v_mfma_f32_16x16x32_fp8_fp8 v[88:91], a[88:89], a[48:49], v[88:91]// 000000004BFC: D3F30058 1D626158
	v_mfma_f32_16x16x32_fp8_fp8 v[88:91], a[90:91], a[50:51], v[88:91]// 000000004C04: D3F30058 1D62655A
	buffer_load_dwordx4 a[164:167], v62, s[24:27], 0 offen offset:1024// 000000004C0C: E05C1400 8086A43E
	v_mfma_f32_16x16x32_fp8_fp8 v[88:91], a[92:93], a[52:53], v[88:91]// 000000004C14: D3F30058 1D62695C
	v_mfma_f32_16x16x32_fp8_fp8 v[88:91], a[94:95], a[54:55], v[88:91]// 000000004C1C: D3F30058 1D626D5E
	v_mfma_f32_16x16x32_fp8_fp8 v[108:111], a[96:97], a[48:49], v[108:111]// 000000004C24: D3F3006C 1DB26160
	v_mfma_f32_16x16x32_fp8_fp8 v[108:111], a[98:99], a[50:51], v[108:111]// 000000004C2C: D3F3006C 1DB26562
	buffer_load_dwordx4 a[168:171], v63, s[24:27], 0 offen     // 000000004C34: E05C1000 8086A83F
	v_mfma_f32_16x16x32_fp8_fp8 v[108:111], a[100:101], a[52:53], v[108:111]// 000000004C3C: D3F3006C 1DB26964
	v_mfma_f32_16x16x32_fp8_fp8 v[108:111], a[102:103], a[54:55], v[108:111]// 000000004C44: D3F3006C 1DB26D66
	v_mfma_f32_16x16x32_fp8_fp8 v[128:131], a[104:105], a[48:49], v[128:131]// 000000004C4C: D3F30080 1E026168
	v_mfma_f32_16x16x32_fp8_fp8 v[128:131], a[106:107], a[50:51], v[128:131]// 000000004C54: D3F30080 1E02656A
	buffer_load_dwordx4 a[172:175], v63, s[24:27], 0 offen offset:1024// 000000004C5C: E05C1400 8086AC3F
	buffer_load_dword v50, s[20:23], 0 offen lds               // 000000004C64: E0511000 80050032
	s_add_u32 m0, 0x100, s50                                   // 000000004C6C: 807C32FF 00000100
	v_mfma_f32_16x16x32_fp8_fp8 v[128:131], a[108:109], a[52:53], v[128:131]// 000000004C74: D3F30080 1E02696C
	v_mfma_f32_16x16x32_fp8_fp8 v[128:131], a[110:111], a[54:55], v[128:131]// 000000004C7C: D3F30080 1E026D6E
	buffer_load_dword v51, s[20:23], 0 offen lds               // 000000004C84: E0511000 80050033
	s_add_u32 m0, 0x200, s50                                   // 000000004C8C: 807C32FF 00000200
	v_mfma_f32_16x16x32_fp8_fp8 v[72:75], a[80:81], a[56:57], v[72:75]// 000000004C94: D3F30048 1D227150
	v_mfma_f32_16x16x32_fp8_fp8 v[72:75], a[82:83], a[58:59], v[72:75]// 000000004C9C: D3F30048 1D227552
	buffer_load_dword v52, s[20:23], 0 offen lds               // 000000004CA4: E0511000 80050034
	s_add_u32 m0, 0x300, s50                                   // 000000004CAC: 807C32FF 00000300
	v_mfma_f32_16x16x32_fp8_fp8 v[72:75], a[84:85], a[60:61], v[72:75]// 000000004CB4: D3F30048 1D227954
	v_mfma_f32_16x16x32_fp8_fp8 v[72:75], a[86:87], a[62:63], v[72:75]// 000000004CBC: D3F30048 1D227D56
	buffer_load_dword v53, s[20:23], 0 offen lds               // 000000004CC4: E0511000 80050035
	s_add_u32 m0, 0x400, s50                                   // 000000004CCC: 807C32FF 00000400
	v_mfma_f32_16x16x32_fp8_fp8 v[92:95], a[88:89], a[56:57], v[92:95]// 000000004CD4: D3F3005C 1D727158
	v_mfma_f32_16x16x32_fp8_fp8 v[92:95], a[90:91], a[58:59], v[92:95]// 000000004CDC: D3F3005C 1D72755A
	buffer_load_dword v54, s[20:23], 0 offen lds               // 000000004CE4: E0511000 80050036
	s_add_u32 m0, 0x500, s50                                   // 000000004CEC: 807C32FF 00000500
	v_mfma_f32_16x16x32_fp8_fp8 v[92:95], a[92:93], a[60:61], v[92:95]// 000000004CF4: D3F3005C 1D72795C
	v_mfma_f32_16x16x32_fp8_fp8 v[92:95], a[94:95], a[62:63], v[92:95]// 000000004CFC: D3F3005C 1D727D5E
	buffer_load_dword v55, s[20:23], 0 offen lds               // 000000004D04: E0511000 80050037
	s_add_u32 m0, 0x600, s50                                   // 000000004D0C: 807C32FF 00000600
	v_mfma_f32_16x16x32_fp8_fp8 v[112:115], a[96:97], a[56:57], v[112:115]// 000000004D14: D3F30070 1DC27160
	v_mfma_f32_16x16x32_fp8_fp8 v[112:115], a[98:99], a[58:59], v[112:115]// 000000004D1C: D3F30070 1DC27562
	buffer_load_dword v56, s[20:23], 0 offen lds               // 000000004D24: E0511000 80050038
	s_add_u32 m0, 0x700, s50                                   // 000000004D2C: 807C32FF 00000700
	v_mfma_f32_16x16x32_fp8_fp8 v[112:115], a[100:101], a[60:61], v[112:115]// 000000004D34: D3F30070 1DC27964
	v_mfma_f32_16x16x32_fp8_fp8 v[112:115], a[102:103], a[62:63], v[112:115]// 000000004D3C: D3F30070 1DC27D66
	buffer_load_dword v57, s[20:23], 0 offen lds               // 000000004D44: E0511000 80050039
	s_add_u32 m0, 0x800, s50                                   // 000000004D4C: 807C32FF 00000800
	v_mfma_f32_16x16x32_fp8_fp8 v[132:135], a[104:105], a[56:57], v[132:135]// 000000004D54: D3F30084 1E127168
	v_mfma_f32_16x16x32_fp8_fp8 v[132:135], a[106:107], a[58:59], v[132:135]// 000000004D5C: D3F30084 1E12756A
	buffer_load_dword v58, s[20:23], 0 offen lds               // 000000004D64: E0511000 8005003A
	s_add_u32 m0, 0x900, s50                                   // 000000004D6C: 807C32FF 00000900
	v_mfma_f32_16x16x32_fp8_fp8 v[132:135], a[108:109], a[60:61], v[132:135]// 000000004D74: D3F30084 1E12796C
	v_mfma_f32_16x16x32_fp8_fp8 v[132:135], a[110:111], a[62:63], v[132:135]// 000000004D7C: D3F30084 1E127D6E
	buffer_load_dword v59, s[20:23], 0 offen lds               // 000000004D84: E0511000 8005003B
	s_add_u32 m0, 0, s48                                       // 000000004D8C: 807C3080
	v_mfma_f32_16x16x32_fp8_fp8 v[76:79], a[80:81], a[64:65], v[76:79]// 000000004D90: D3F3004C 1D328150
	v_mfma_f32_16x16x32_fp8_fp8 v[76:79], a[82:83], a[66:67], v[76:79]// 000000004D98: D3F3004C 1D328552
	v_mfma_f32_16x16x32_fp8_fp8 v[76:79], a[84:85], a[68:69], v[76:79]// 000000004DA0: D3F3004C 1D328954
	v_mfma_f32_16x16x32_fp8_fp8 v[76:79], a[86:87], a[70:71], v[76:79]// 000000004DA8: D3F3004C 1D328D56
	v_mfma_f32_16x16x32_fp8_fp8 v[96:99], a[88:89], a[64:65], v[96:99]// 000000004DB0: D3F30060 1D828158
	v_mfma_f32_16x16x32_fp8_fp8 v[96:99], a[90:91], a[66:67], v[96:99]// 000000004DB8: D3F30060 1D82855A
	v_mfma_f32_16x16x32_fp8_fp8 v[96:99], a[92:93], a[68:69], v[96:99]// 000000004DC0: D3F30060 1D82895C
	v_mfma_f32_16x16x32_fp8_fp8 v[96:99], a[94:95], a[70:71], v[96:99]// 000000004DC8: D3F30060 1D828D5E
	v_mfma_f32_16x16x32_fp8_fp8 v[116:119], a[96:97], a[64:65], v[116:119]// 000000004DD0: D3F30074 1DD28160
	v_mfma_f32_16x16x32_fp8_fp8 v[116:119], a[98:99], a[66:67], v[116:119]// 000000004DD8: D3F30074 1DD28562
	v_mfma_f32_16x16x32_fp8_fp8 v[116:119], a[100:101], a[68:69], v[116:119]// 000000004DE0: D3F30074 1DD28964
	v_mfma_f32_16x16x32_fp8_fp8 v[116:119], a[102:103], a[70:71], v[116:119]// 000000004DE8: D3F30074 1DD28D66
	v_mfma_f32_16x16x32_fp8_fp8 v[136:139], a[104:105], a[64:65], v[136:139]// 000000004DF0: D3F30088 1E228168
	v_mfma_f32_16x16x32_fp8_fp8 v[136:139], a[106:107], a[66:67], v[136:139]// 000000004DF8: D3F30088 1E22856A
	v_mfma_f32_16x16x32_fp8_fp8 v[136:139], a[108:109], a[68:69], v[136:139]// 000000004E00: D3F30088 1E22896C
	v_mfma_f32_16x16x32_fp8_fp8 v[136:139], a[110:111], a[70:71], v[136:139]// 000000004E08: D3F30088 1E228D6E
	v_mfma_f32_16x16x32_fp8_fp8 v[80:83], a[80:81], a[72:73], v[80:83]// 000000004E10: D3F30050 1D429150
	v_mfma_f32_16x16x32_fp8_fp8 v[80:83], a[82:83], a[74:75], v[80:83]// 000000004E18: D3F30050 1D429552
	v_mfma_f32_16x16x32_fp8_fp8 v[80:83], a[84:85], a[76:77], v[80:83]// 000000004E20: D3F30050 1D429954
	v_mfma_f32_16x16x32_fp8_fp8 v[80:83], a[86:87], a[78:79], v[80:83]// 000000004E28: D3F30050 1D429D56
	v_mfma_f32_16x16x32_fp8_fp8 v[100:103], a[88:89], a[72:73], v[100:103]// 000000004E30: D3F30064 1D929158
	v_mfma_f32_16x16x32_fp8_fp8 v[100:103], a[90:91], a[74:75], v[100:103]// 000000004E38: D3F30064 1D92955A
	v_mfma_f32_16x16x32_fp8_fp8 v[100:103], a[92:93], a[76:77], v[100:103]// 000000004E40: D3F30064 1D92995C
	v_mfma_f32_16x16x32_fp8_fp8 v[100:103], a[94:95], a[78:79], v[100:103]// 000000004E48: D3F30064 1D929D5E
	v_mfma_f32_16x16x32_fp8_fp8 v[120:123], a[96:97], a[72:73], v[120:123]// 000000004E50: D3F30078 1DE29160
	v_mfma_f32_16x16x32_fp8_fp8 v[120:123], a[98:99], a[74:75], v[120:123]// 000000004E58: D3F30078 1DE29562
	v_mfma_f32_16x16x32_fp8_fp8 v[120:123], a[100:101], a[76:77], v[120:123]// 000000004E60: D3F30078 1DE29964
	v_mfma_f32_16x16x32_fp8_fp8 v[120:123], a[102:103], a[78:79], v[120:123]// 000000004E68: D3F30078 1DE29D66
	v_mfma_f32_16x16x32_fp8_fp8 v[140:143], a[104:105], a[72:73], v[140:143]// 000000004E70: D3F3008C 1E329168
	v_mfma_f32_16x16x32_fp8_fp8 v[140:143], a[106:107], a[74:75], v[140:143]// 000000004E78: D3F3008C 1E32956A
	v_mfma_f32_16x16x32_fp8_fp8 v[140:143], a[108:109], a[76:77], v[140:143]// 000000004E80: D3F3008C 1E32996C
	v_mfma_f32_16x16x32_fp8_fp8 v[140:143], a[110:111], a[78:79], v[140:143]// 000000004E88: D3F3008C 1E329D6E
	s_waitcnt vmcnt(18)                                        // 000000004E90: BF8C4F72
	s_barrier                                                  // 000000004E94: BF8A0000
	v_mfma_f32_16x16x32_fp8_fp8 v[144:147], a[112:113], a[40:41], v[144:147]// 000000004E98: D3F30090 1E425170
	v_mfma_f32_16x16x32_fp8_fp8 v[144:147], a[114:115], a[42:43], v[144:147]// 000000004EA0: D3F30090 1E425572
	buffer_load_dwordx4 a[80:83], v60, s[84:87], 0 offen       // 000000004EA8: E05C1000 8095503C
	v_mfma_f32_16x16x32_fp8_fp8 v[144:147], a[116:117], a[44:45], v[144:147]// 000000004EB0: D3F30090 1E425974
	v_mfma_f32_16x16x32_fp8_fp8 v[144:147], a[118:119], a[46:47], v[144:147]// 000000004EB8: D3F30090 1E425D76
	ds_read_b128 a[0:3], v2 offset:10368                       // 000000004EC0: DBFE2880 00000002
	ds_read_b128 a[4:7], v2 offset:10432                       // 000000004EC8: DBFE28C0 04000002
	v_mfma_f32_16x16x32_fp8_fp8 v[164:167], a[120:121], a[40:41], v[164:167]// 000000004ED0: D3F300A4 1E925178
	v_mfma_f32_16x16x32_fp8_fp8 v[164:167], a[122:123], a[42:43], v[164:167]// 000000004ED8: D3F300A4 1E92557A
	buffer_load_dwordx4 a[84:87], v60, s[84:87], 0 offen offset:1024// 000000004EE0: E05C1400 8095543C
	v_mfma_f32_16x16x32_fp8_fp8 v[164:167], a[124:125], a[44:45], v[164:167]// 000000004EE8: D3F300A4 1E92597C
	v_mfma_f32_16x16x32_fp8_fp8 v[164:167], a[126:127], a[46:47], v[164:167]// 000000004EF0: D3F300A4 1E925D7E
	ds_read_b128 a[8:11], v2 offset:10880                      // 000000004EF8: DBFE2A80 08000002
	ds_read_b128 a[12:15], v2 offset:10944                     // 000000004F00: DBFE2AC0 0C000002
	v_mfma_f32_16x16x32_fp8_fp8 v[184:187], a[128:129], a[40:41], v[184:187]// 000000004F08: D3F300B8 1EE25180
	v_mfma_f32_16x16x32_fp8_fp8 v[184:187], a[130:131], a[42:43], v[184:187]// 000000004F10: D3F300B8 1EE25582
	buffer_load_dwordx4 a[88:91], v61, s[84:87], 0 offen       // 000000004F18: E05C1000 8095583D
	v_mfma_f32_16x16x32_fp8_fp8 v[184:187], a[132:133], a[44:45], v[184:187]// 000000004F20: D3F300B8 1EE25984
	v_mfma_f32_16x16x32_fp8_fp8 v[184:187], a[134:135], a[46:47], v[184:187]// 000000004F28: D3F300B8 1EE25D86
	ds_read_b128 a[16:19], v2 offset:11392                     // 000000004F30: DBFE2C80 10000002
	ds_read_b128 a[20:23], v2 offset:11456                     // 000000004F38: DBFE2CC0 14000002
	v_mfma_f32_16x16x32_fp8_fp8 v[204:207], a[136:137], a[40:41], v[204:207]// 000000004F40: D3F300CC 1F325188
	v_mfma_f32_16x16x32_fp8_fp8 v[204:207], a[138:139], a[42:43], v[204:207]// 000000004F48: D3F300CC 1F32558A
	buffer_load_dwordx4 a[92:95], v61, s[84:87], 0 offen offset:1024// 000000004F50: E05C1400 80955C3D
	v_mfma_f32_16x16x32_fp8_fp8 v[204:207], a[140:141], a[44:45], v[204:207]// 000000004F58: D3F300CC 1F32598C
	v_mfma_f32_16x16x32_fp8_fp8 v[204:207], a[142:143], a[46:47], v[204:207]// 000000004F60: D3F300CC 1F325D8E
	ds_read_b128 a[24:27], v2 offset:11904                     // 000000004F68: DBFE2E80 18000002
	ds_read_b128 a[28:31], v2 offset:11968                     // 000000004F70: DBFE2EC0 1C000002
	v_mfma_f32_16x16x32_fp8_fp8 v[148:151], a[112:113], a[48:49], v[148:151]// 000000004F78: D3F30094 1E526170
	v_mfma_f32_16x16x32_fp8_fp8 v[148:151], a[114:115], a[50:51], v[148:151]// 000000004F80: D3F30094 1E526572
	buffer_load_dwordx4 a[96:99], v62, s[84:87], 0 offen       // 000000004F88: E05C1000 8095603E
	v_mfma_f32_16x16x32_fp8_fp8 v[148:151], a[116:117], a[52:53], v[148:151]// 000000004F90: D3F30094 1E526974
	v_mfma_f32_16x16x32_fp8_fp8 v[148:151], a[118:119], a[54:55], v[148:151]// 000000004F98: D3F30094 1E526D76
	ds_read_b128 a[32:35], v2 offset:12416                     // 000000004FA0: DBFE3080 20000002
	ds_read_b128 a[36:39], v2 offset:12480                     // 000000004FA8: DBFE30C0 24000002
	v_mfma_f32_16x16x32_fp8_fp8 v[168:171], a[120:121], a[48:49], v[168:171]// 000000004FB0: D3F300A8 1EA26178
	v_mfma_f32_16x16x32_fp8_fp8 v[168:171], a[122:123], a[50:51], v[168:171]// 000000004FB8: D3F300A8 1EA2657A
	buffer_load_dwordx4 a[100:103], v62, s[84:87], 0 offen offset:1024// 000000004FC0: E05C1400 8095643E
	v_mfma_f32_16x16x32_fp8_fp8 v[168:171], a[124:125], a[52:53], v[168:171]// 000000004FC8: D3F300A8 1EA2697C
	v_mfma_f32_16x16x32_fp8_fp8 v[168:171], a[126:127], a[54:55], v[168:171]// 000000004FD0: D3F300A8 1EA26D7E
	v_mfma_f32_16x16x32_fp8_fp8 v[188:191], a[128:129], a[48:49], v[188:191]// 000000004FD8: D3F300BC 1EF26180
	v_mfma_f32_16x16x32_fp8_fp8 v[188:191], a[130:131], a[50:51], v[188:191]// 000000004FE0: D3F300BC 1EF26582
	buffer_load_dwordx4 a[104:107], v63, s[84:87], 0 offen     // 000000004FE8: E05C1000 8095683F
	v_mfma_f32_16x16x32_fp8_fp8 v[188:191], a[132:133], a[52:53], v[188:191]// 000000004FF0: D3F300BC 1EF26984
	v_mfma_f32_16x16x32_fp8_fp8 v[188:191], a[134:135], a[54:55], v[188:191]// 000000004FF8: D3F300BC 1EF26D86
	v_mfma_f32_16x16x32_fp8_fp8 v[208:211], a[136:137], a[48:49], v[208:211]// 000000005000: D3F300D0 1F426188
	v_mfma_f32_16x16x32_fp8_fp8 v[208:211], a[138:139], a[50:51], v[208:211]// 000000005008: D3F300D0 1F42658A
	buffer_load_dwordx4 a[108:111], v63, s[84:87], 0 offen offset:1024// 000000005010: E05C1400 80956C3F
	v_mfma_f32_16x16x32_fp8_fp8 v[208:211], a[140:141], a[52:53], v[208:211]// 000000005018: D3F300D0 1F42698C
	v_mfma_f32_16x16x32_fp8_fp8 v[208:211], a[142:143], a[54:55], v[208:211]// 000000005020: D3F300D0 1F426D8E
	v_mfma_f32_16x16x32_fp8_fp8 v[152:155], a[112:113], a[56:57], v[152:155]// 000000005028: D3F30098 1E627170
	v_mfma_f32_16x16x32_fp8_fp8 v[152:155], a[114:115], a[58:59], v[152:155]// 000000005030: D3F30098 1E627572
	v_mfma_f32_16x16x32_fp8_fp8 v[152:155], a[116:117], a[60:61], v[152:155]// 000000005038: D3F30098 1E627974
	v_mfma_f32_16x16x32_fp8_fp8 v[152:155], a[118:119], a[62:63], v[152:155]// 000000005040: D3F30098 1E627D76
	v_mfma_f32_16x16x32_fp8_fp8 v[172:175], a[120:121], a[56:57], v[172:175]// 000000005048: D3F300AC 1EB27178
	v_mfma_f32_16x16x32_fp8_fp8 v[172:175], a[122:123], a[58:59], v[172:175]// 000000005050: D3F300AC 1EB2757A
	v_mfma_f32_16x16x32_fp8_fp8 v[172:175], a[124:125], a[60:61], v[172:175]// 000000005058: D3F300AC 1EB2797C
	v_mfma_f32_16x16x32_fp8_fp8 v[172:175], a[126:127], a[62:63], v[172:175]// 000000005060: D3F300AC 1EB27D7E
	v_mfma_f32_16x16x32_fp8_fp8 v[192:195], a[128:129], a[56:57], v[192:195]// 000000005068: D3F300C0 1F027180
	v_mfma_f32_16x16x32_fp8_fp8 v[192:195], a[130:131], a[58:59], v[192:195]// 000000005070: D3F300C0 1F027582
	v_mfma_f32_16x16x32_fp8_fp8 v[192:195], a[132:133], a[60:61], v[192:195]// 000000005078: D3F300C0 1F027984
	v_mfma_f32_16x16x32_fp8_fp8 v[192:195], a[134:135], a[62:63], v[192:195]// 000000005080: D3F300C0 1F027D86
	v_mfma_f32_16x16x32_fp8_fp8 v[212:215], a[136:137], a[56:57], v[212:215]// 000000005088: D3F300D4 1F527188
	v_mfma_f32_16x16x32_fp8_fp8 v[212:215], a[138:139], a[58:59], v[212:215]// 000000005090: D3F300D4 1F52758A
	v_mfma_f32_16x16x32_fp8_fp8 v[212:215], a[140:141], a[60:61], v[212:215]// 000000005098: D3F300D4 1F52798C
	v_mfma_f32_16x16x32_fp8_fp8 v[212:215], a[142:143], a[62:63], v[212:215]// 0000000050A0: D3F300D4 1F527D8E
	v_mfma_f32_16x16x32_fp8_fp8 v[156:159], a[112:113], a[64:65], v[156:159]// 0000000050A8: D3F3009C 1E728170
	v_mfma_f32_16x16x32_fp8_fp8 v[156:159], a[114:115], a[66:67], v[156:159]// 0000000050B0: D3F3009C 1E728572
	v_mfma_f32_16x16x32_fp8_fp8 v[156:159], a[116:117], a[68:69], v[156:159]// 0000000050B8: D3F3009C 1E728974
	v_mfma_f32_16x16x32_fp8_fp8 v[156:159], a[118:119], a[70:71], v[156:159]// 0000000050C0: D3F3009C 1E728D76
	v_mfma_f32_16x16x32_fp8_fp8 v[176:179], a[120:121], a[64:65], v[176:179]// 0000000050C8: D3F300B0 1EC28178
	v_mfma_f32_16x16x32_fp8_fp8 v[176:179], a[122:123], a[66:67], v[176:179]// 0000000050D0: D3F300B0 1EC2857A
	v_mfma_f32_16x16x32_fp8_fp8 v[176:179], a[124:125], a[68:69], v[176:179]// 0000000050D8: D3F300B0 1EC2897C
	v_mfma_f32_16x16x32_fp8_fp8 v[176:179], a[126:127], a[70:71], v[176:179]// 0000000050E0: D3F300B0 1EC28D7E
	v_mfma_f32_16x16x32_fp8_fp8 v[196:199], a[128:129], a[64:65], v[196:199]// 0000000050E8: D3F300C4 1F128180
	v_mfma_f32_16x16x32_fp8_fp8 v[196:199], a[130:131], a[66:67], v[196:199]// 0000000050F0: D3F300C4 1F128582
	v_mfma_f32_16x16x32_fp8_fp8 v[196:199], a[132:133], a[68:69], v[196:199]// 0000000050F8: D3F300C4 1F128984
	v_mfma_f32_16x16x32_fp8_fp8 v[196:199], a[134:135], a[70:71], v[196:199]// 000000005100: D3F300C4 1F128D86
	v_mfma_f32_16x16x32_fp8_fp8 v[216:219], a[136:137], a[64:65], v[216:219]// 000000005108: D3F300D8 1F628188
	v_mfma_f32_16x16x32_fp8_fp8 v[216:219], a[138:139], a[66:67], v[216:219]// 000000005110: D3F300D8 1F62858A
	v_mfma_f32_16x16x32_fp8_fp8 v[216:219], a[140:141], a[68:69], v[216:219]// 000000005118: D3F300D8 1F62898C
	v_mfma_f32_16x16x32_fp8_fp8 v[216:219], a[142:143], a[70:71], v[216:219]// 000000005120: D3F300D8 1F628D8E
	v_mfma_f32_16x16x32_fp8_fp8 v[160:163], a[112:113], a[72:73], v[160:163]// 000000005128: D3F300A0 1E829170
	v_mfma_f32_16x16x32_fp8_fp8 v[160:163], a[114:115], a[74:75], v[160:163]// 000000005130: D3F300A0 1E829572
	v_mfma_f32_16x16x32_fp8_fp8 v[160:163], a[116:117], a[76:77], v[160:163]// 000000005138: D3F300A0 1E829974
	v_mfma_f32_16x16x32_fp8_fp8 v[160:163], a[118:119], a[78:79], v[160:163]// 000000005140: D3F300A0 1E829D76
	v_mfma_f32_16x16x32_fp8_fp8 v[180:183], a[120:121], a[72:73], v[180:183]// 000000005148: D3F300B4 1ED29178
	v_mfma_f32_16x16x32_fp8_fp8 v[180:183], a[122:123], a[74:75], v[180:183]// 000000005150: D3F300B4 1ED2957A
	v_mfma_f32_16x16x32_fp8_fp8 v[180:183], a[124:125], a[76:77], v[180:183]// 000000005158: D3F300B4 1ED2997C
	v_mfma_f32_16x16x32_fp8_fp8 v[180:183], a[126:127], a[78:79], v[180:183]// 000000005160: D3F300B4 1ED29D7E
	v_mfma_f32_16x16x32_fp8_fp8 v[200:203], a[128:129], a[72:73], v[200:203]// 000000005168: D3F300C8 1F229180
	s_add_u32 s60, 0x180, s80                                  // 000000005170: 803C50FF 00000180
	s_cmp_lt_u32 s60, s81                                      // 000000005178: BF0A513C
	s_cselect_b32 s57, s57, 0                                  // 00000000517C: 85398039
	v_mfma_f32_16x16x32_fp8_fp8 v[200:203], a[130:131], a[74:75], v[200:203]// 000000005180: D3F300C8 1F229582
	s_add_u32 s60, 0x100, s80                                  // 000000005188: 803C50FF 00000100
	s_cmp_lt_u32 s60, s81                                      // 000000005190: BF0A513C
	s_cselect_b32 s58, s58, 0                                  // 000000005194: 853A803A
	v_mfma_f32_16x16x32_fp8_fp8 v[200:203], a[132:133], a[76:77], v[200:203]// 000000005198: D3F300C8 1F229984
	s_add_u32 s60, 0x100, s80                                  // 0000000051A0: 803C50FF 00000100
	s_cmp_lt_u32 s60, s81                                      // 0000000051A8: BF0A513C
	s_cselect_b32 s83, s83, 0                                  // 0000000051AC: 85538053
	v_mfma_f32_16x16x32_fp8_fp8 v[200:203], a[134:135], a[78:79], v[200:203]// 0000000051B0: D3F300C8 1F229D86
	s_add_u32 s24, s58, s24                                    // 0000000051B8: 8018183A
	s_addc_u32 s25, 0, s25                                     // 0000000051BC: 82191980
	v_mfma_f32_16x16x32_fp8_fp8 v[220:223], a[136:137], a[72:73], v[220:223]// 0000000051C0: D3F300DC 1F729188
	s_add_u32 s20, s57, s20                                    // 0000000051C8: 80141439
	s_addc_u32 s21, 0, s21                                     // 0000000051CC: 82151580
	v_mfma_f32_16x16x32_fp8_fp8 v[220:223], a[138:139], a[74:75], v[220:223]// 0000000051D0: D3F300DC 1F72958A
	s_add_u32 s84, s83, s84                                    // 0000000051D8: 80545453
	s_addc_u32 s85, 0, s85                                     // 0000000051DC: 82555580
	v_mfma_f32_16x16x32_fp8_fp8 v[220:223], a[140:141], a[76:77], v[220:223]// 0000000051E0: D3F300DC 1F72998C
	v_mfma_f32_16x16x32_fp8_fp8 v[220:223], a[142:143], a[78:79], v[220:223]// 0000000051E8: D3F300DC 1F729D8E
	s_addk_i32 s80, 0x80                                       // 0000000051F0: B7500080
	s_cmp_lt_i32 s80, s81                                      // 0000000051F4: BF045150
	s_cbranch_scc0 label_0D66                                  // 0000000051F8: BF840367
	s_waitcnt vmcnt(18) lgkmcnt(0)                             // 0000000051FC: BF8C4072
	v_mfma_f32_16x16x32_fp8_fp8 v[64:67], a[144:145], a[0:1], v[64:67]// 000000005200: D3F30040 1D020190
	v_mfma_f32_16x16x32_fp8_fp8 v[64:67], a[146:147], a[2:3], v[64:67]// 000000005208: D3F30040 1D020592
	buffer_load_dwordx4 a[112:115], v60, s[24:27], 0 offen     // 000000005210: E05C1000 8086703C
	v_mfma_f32_16x16x32_fp8_fp8 v[64:67], a[148:149], a[4:5], v[64:67]// 000000005218: D3F30040 1D020994
	v_mfma_f32_16x16x32_fp8_fp8 v[64:67], a[150:151], a[6:7], v[64:67]// 000000005220: D3F30040 1D020D96
	v_mfma_f32_16x16x32_fp8_fp8 v[84:87], a[152:153], a[0:1], v[84:87]// 000000005228: D3F30054 1D520198
	v_mfma_f32_16x16x32_fp8_fp8 v[84:87], a[154:155], a[2:3], v[84:87]// 000000005230: D3F30054 1D52059A
	buffer_load_dwordx4 a[116:119], v60, s[24:27], 0 offen offset:1024// 000000005238: E05C1400 8086743C
	v_mfma_f32_16x16x32_fp8_fp8 v[84:87], a[156:157], a[4:5], v[84:87]// 000000005240: D3F30054 1D52099C
	v_mfma_f32_16x16x32_fp8_fp8 v[84:87], a[158:159], a[6:7], v[84:87]// 000000005248: D3F30054 1D520D9E
	v_mfma_f32_16x16x32_fp8_fp8 v[104:107], a[160:161], a[0:1], v[104:107]// 000000005250: D3F30068 1DA201A0
	v_mfma_f32_16x16x32_fp8_fp8 v[104:107], a[162:163], a[2:3], v[104:107]// 000000005258: D3F30068 1DA205A2
	buffer_load_dwordx4 a[120:123], v61, s[24:27], 0 offen     // 000000005260: E05C1000 8086783D
	v_mfma_f32_16x16x32_fp8_fp8 v[104:107], a[164:165], a[4:5], v[104:107]// 000000005268: D3F30068 1DA209A4
	v_mfma_f32_16x16x32_fp8_fp8 v[104:107], a[166:167], a[6:7], v[104:107]// 000000005270: D3F30068 1DA20DA6
	v_mfma_f32_16x16x32_fp8_fp8 v[124:127], a[168:169], a[0:1], v[124:127]// 000000005278: D3F3007C 1DF201A8
	v_mfma_f32_16x16x32_fp8_fp8 v[124:127], a[170:171], a[2:3], v[124:127]// 000000005280: D3F3007C 1DF205AA
	buffer_load_dwordx4 a[124:127], v61, s[24:27], 0 offen offset:1024// 000000005288: E05C1400 80867C3D
	v_mfma_f32_16x16x32_fp8_fp8 v[124:127], a[172:173], a[4:5], v[124:127]// 000000005290: D3F3007C 1DF209AC
	v_mfma_f32_16x16x32_fp8_fp8 v[124:127], a[174:175], a[6:7], v[124:127]// 000000005298: D3F3007C 1DF20DAE
	v_mfma_f32_16x16x32_fp8_fp8 v[68:71], a[144:145], a[8:9], v[68:71]// 0000000052A0: D3F30044 1D121190
	v_mfma_f32_16x16x32_fp8_fp8 v[68:71], a[146:147], a[10:11], v[68:71]// 0000000052A8: D3F30044 1D121592
	buffer_load_dwordx4 a[128:131], v62, s[24:27], 0 offen     // 0000000052B0: E05C1000 8086803E
	v_mfma_f32_16x16x32_fp8_fp8 v[68:71], a[148:149], a[12:13], v[68:71]// 0000000052B8: D3F30044 1D121994
	v_mfma_f32_16x16x32_fp8_fp8 v[68:71], a[150:151], a[14:15], v[68:71]// 0000000052C0: D3F30044 1D121D96
	v_mfma_f32_16x16x32_fp8_fp8 v[88:91], a[152:153], a[8:9], v[88:91]// 0000000052C8: D3F30058 1D621198
	v_mfma_f32_16x16x32_fp8_fp8 v[88:91], a[154:155], a[10:11], v[88:91]// 0000000052D0: D3F30058 1D62159A
	buffer_load_dwordx4 a[132:135], v62, s[24:27], 0 offen offset:1024// 0000000052D8: E05C1400 8086843E
	v_mfma_f32_16x16x32_fp8_fp8 v[88:91], a[156:157], a[12:13], v[88:91]// 0000000052E0: D3F30058 1D62199C
	v_mfma_f32_16x16x32_fp8_fp8 v[88:91], a[158:159], a[14:15], v[88:91]// 0000000052E8: D3F30058 1D621D9E
	v_mfma_f32_16x16x32_fp8_fp8 v[108:111], a[160:161], a[8:9], v[108:111]// 0000000052F0: D3F3006C 1DB211A0
	v_mfma_f32_16x16x32_fp8_fp8 v[108:111], a[162:163], a[10:11], v[108:111]// 0000000052F8: D3F3006C 1DB215A2
	buffer_load_dwordx4 a[136:139], v63, s[24:27], 0 offen     // 000000005300: E05C1000 8086883F
	v_mfma_f32_16x16x32_fp8_fp8 v[108:111], a[164:165], a[12:13], v[108:111]// 000000005308: D3F3006C 1DB219A4
	v_mfma_f32_16x16x32_fp8_fp8 v[108:111], a[166:167], a[14:15], v[108:111]// 000000005310: D3F3006C 1DB21DA6
	v_mfma_f32_16x16x32_fp8_fp8 v[128:131], a[168:169], a[8:9], v[128:131]// 000000005318: D3F30080 1E0211A8
	v_mfma_f32_16x16x32_fp8_fp8 v[128:131], a[170:171], a[10:11], v[128:131]// 000000005320: D3F30080 1E0215AA
	buffer_load_dwordx4 a[140:143], v63, s[24:27], 0 offen offset:1024// 000000005328: E05C1400 80868C3F
	buffer_load_dword v50, s[20:23], 0 offen lds               // 000000005330: E0511000 80050032
	s_add_u32 m0, 0x100, s48                                   // 000000005338: 807C30FF 00000100
	v_mfma_f32_16x16x32_fp8_fp8 v[128:131], a[172:173], a[12:13], v[128:131]// 000000005340: D3F30080 1E0219AC
	v_mfma_f32_16x16x32_fp8_fp8 v[128:131], a[174:175], a[14:15], v[128:131]// 000000005348: D3F30080 1E021DAE
	buffer_load_dword v51, s[20:23], 0 offen lds               // 000000005350: E0511000 80050033
	s_add_u32 m0, 0x200, s48                                   // 000000005358: 807C30FF 00000200
	v_mfma_f32_16x16x32_fp8_fp8 v[72:75], a[144:145], a[16:17], v[72:75]// 000000005360: D3F30048 1D222190
	v_mfma_f32_16x16x32_fp8_fp8 v[72:75], a[146:147], a[18:19], v[72:75]// 000000005368: D3F30048 1D222592
	buffer_load_dword v52, s[20:23], 0 offen lds               // 000000005370: E0511000 80050034
	s_add_u32 m0, 0x300, s48                                   // 000000005378: 807C30FF 00000300
	v_mfma_f32_16x16x32_fp8_fp8 v[72:75], a[148:149], a[20:21], v[72:75]// 000000005380: D3F30048 1D222994
	v_mfma_f32_16x16x32_fp8_fp8 v[72:75], a[150:151], a[22:23], v[72:75]// 000000005388: D3F30048 1D222D96
	buffer_load_dword v53, s[20:23], 0 offen lds               // 000000005390: E0511000 80050035
	s_add_u32 m0, 0x400, s48                                   // 000000005398: 807C30FF 00000400
	v_mfma_f32_16x16x32_fp8_fp8 v[92:95], a[152:153], a[16:17], v[92:95]// 0000000053A0: D3F3005C 1D722198
	v_mfma_f32_16x16x32_fp8_fp8 v[92:95], a[154:155], a[18:19], v[92:95]// 0000000053A8: D3F3005C 1D72259A
	buffer_load_dword v54, s[20:23], 0 offen lds               // 0000000053B0: E0511000 80050036
	s_add_u32 m0, 0x500, s48                                   // 0000000053B8: 807C30FF 00000500
	v_mfma_f32_16x16x32_fp8_fp8 v[92:95], a[156:157], a[20:21], v[92:95]// 0000000053C0: D3F3005C 1D72299C
	v_mfma_f32_16x16x32_fp8_fp8 v[92:95], a[158:159], a[22:23], v[92:95]// 0000000053C8: D3F3005C 1D722D9E
	buffer_load_dword v55, s[20:23], 0 offen lds               // 0000000053D0: E0511000 80050037
	s_add_u32 m0, 0x600, s48                                   // 0000000053D8: 807C30FF 00000600
	v_mfma_f32_16x16x32_fp8_fp8 v[112:115], a[160:161], a[16:17], v[112:115]// 0000000053E0: D3F30070 1DC221A0
	v_mfma_f32_16x16x32_fp8_fp8 v[112:115], a[162:163], a[18:19], v[112:115]// 0000000053E8: D3F30070 1DC225A2
	buffer_load_dword v56, s[20:23], 0 offen lds               // 0000000053F0: E0511000 80050038
	s_add_u32 m0, 0x700, s48                                   // 0000000053F8: 807C30FF 00000700
	v_mfma_f32_16x16x32_fp8_fp8 v[112:115], a[164:165], a[20:21], v[112:115]// 000000005400: D3F30070 1DC229A4
	v_mfma_f32_16x16x32_fp8_fp8 v[112:115], a[166:167], a[22:23], v[112:115]// 000000005408: D3F30070 1DC22DA6
	buffer_load_dword v57, s[20:23], 0 offen lds               // 000000005410: E0511000 80050039
	s_add_u32 m0, 0x800, s48                                   // 000000005418: 807C30FF 00000800
	v_mfma_f32_16x16x32_fp8_fp8 v[132:135], a[168:169], a[16:17], v[132:135]// 000000005420: D3F30084 1E1221A8
	v_mfma_f32_16x16x32_fp8_fp8 v[132:135], a[170:171], a[18:19], v[132:135]// 000000005428: D3F30084 1E1225AA
	buffer_load_dword v58, s[20:23], 0 offen lds               // 000000005430: E0511000 8005003A
	s_add_u32 m0, 0x900, s48                                   // 000000005438: 807C30FF 00000900
	v_mfma_f32_16x16x32_fp8_fp8 v[132:135], a[172:173], a[20:21], v[132:135]// 000000005440: D3F30084 1E1229AC
	v_mfma_f32_16x16x32_fp8_fp8 v[132:135], a[174:175], a[22:23], v[132:135]// 000000005448: D3F30084 1E122DAE
	buffer_load_dword v59, s[20:23], 0 offen lds               // 000000005450: E0511000 8005003B
	s_add_u32 m0, 0, s49                                       // 000000005458: 807C3180
	v_mfma_f32_16x16x32_fp8_fp8 v[76:79], a[144:145], a[24:25], v[76:79]// 00000000545C: D3F3004C 1D323190
	v_mfma_f32_16x16x32_fp8_fp8 v[76:79], a[146:147], a[26:27], v[76:79]// 000000005464: D3F3004C 1D323592
	v_mfma_f32_16x16x32_fp8_fp8 v[76:79], a[148:149], a[28:29], v[76:79]// 00000000546C: D3F3004C 1D323994
	v_mfma_f32_16x16x32_fp8_fp8 v[76:79], a[150:151], a[30:31], v[76:79]// 000000005474: D3F3004C 1D323D96
	v_mfma_f32_16x16x32_fp8_fp8 v[96:99], a[152:153], a[24:25], v[96:99]// 00000000547C: D3F30060 1D823198
	v_mfma_f32_16x16x32_fp8_fp8 v[96:99], a[154:155], a[26:27], v[96:99]// 000000005484: D3F30060 1D82359A
	v_mfma_f32_16x16x32_fp8_fp8 v[96:99], a[156:157], a[28:29], v[96:99]// 00000000548C: D3F30060 1D82399C
	v_mfma_f32_16x16x32_fp8_fp8 v[96:99], a[158:159], a[30:31], v[96:99]// 000000005494: D3F30060 1D823D9E
	v_mfma_f32_16x16x32_fp8_fp8 v[116:119], a[160:161], a[24:25], v[116:119]// 00000000549C: D3F30074 1DD231A0
	v_mfma_f32_16x16x32_fp8_fp8 v[116:119], a[162:163], a[26:27], v[116:119]// 0000000054A4: D3F30074 1DD235A2
	v_mfma_f32_16x16x32_fp8_fp8 v[116:119], a[164:165], a[28:29], v[116:119]// 0000000054AC: D3F30074 1DD239A4
	v_mfma_f32_16x16x32_fp8_fp8 v[116:119], a[166:167], a[30:31], v[116:119]// 0000000054B4: D3F30074 1DD23DA6
	v_mfma_f32_16x16x32_fp8_fp8 v[136:139], a[168:169], a[24:25], v[136:139]// 0000000054BC: D3F30088 1E2231A8
	v_mfma_f32_16x16x32_fp8_fp8 v[136:139], a[170:171], a[26:27], v[136:139]// 0000000054C4: D3F30088 1E2235AA
	v_mfma_f32_16x16x32_fp8_fp8 v[136:139], a[172:173], a[28:29], v[136:139]// 0000000054CC: D3F30088 1E2239AC
	v_mfma_f32_16x16x32_fp8_fp8 v[136:139], a[174:175], a[30:31], v[136:139]// 0000000054D4: D3F30088 1E223DAE
	v_mfma_f32_16x16x32_fp8_fp8 v[80:83], a[144:145], a[32:33], v[80:83]// 0000000054DC: D3F30050 1D424190
	v_mfma_f32_16x16x32_fp8_fp8 v[80:83], a[146:147], a[34:35], v[80:83]// 0000000054E4: D3F30050 1D424592
	v_mfma_f32_16x16x32_fp8_fp8 v[80:83], a[148:149], a[36:37], v[80:83]// 0000000054EC: D3F30050 1D424994
	v_mfma_f32_16x16x32_fp8_fp8 v[80:83], a[150:151], a[38:39], v[80:83]// 0000000054F4: D3F30050 1D424D96
	v_mfma_f32_16x16x32_fp8_fp8 v[100:103], a[152:153], a[32:33], v[100:103]// 0000000054FC: D3F30064 1D924198
	v_mfma_f32_16x16x32_fp8_fp8 v[100:103], a[154:155], a[34:35], v[100:103]// 000000005504: D3F30064 1D92459A
	v_mfma_f32_16x16x32_fp8_fp8 v[100:103], a[156:157], a[36:37], v[100:103]// 00000000550C: D3F30064 1D92499C
	v_mfma_f32_16x16x32_fp8_fp8 v[100:103], a[158:159], a[38:39], v[100:103]// 000000005514: D3F30064 1D924D9E
	v_mfma_f32_16x16x32_fp8_fp8 v[120:123], a[160:161], a[32:33], v[120:123]// 00000000551C: D3F30078 1DE241A0
	v_mfma_f32_16x16x32_fp8_fp8 v[120:123], a[162:163], a[34:35], v[120:123]// 000000005524: D3F30078 1DE245A2
	v_mfma_f32_16x16x32_fp8_fp8 v[120:123], a[164:165], a[36:37], v[120:123]// 00000000552C: D3F30078 1DE249A4
	v_mfma_f32_16x16x32_fp8_fp8 v[120:123], a[166:167], a[38:39], v[120:123]// 000000005534: D3F30078 1DE24DA6
	v_mfma_f32_16x16x32_fp8_fp8 v[140:143], a[168:169], a[32:33], v[140:143]// 00000000553C: D3F3008C 1E3241A8
	v_mfma_f32_16x16x32_fp8_fp8 v[140:143], a[170:171], a[34:35], v[140:143]// 000000005544: D3F3008C 1E3245AA
	v_mfma_f32_16x16x32_fp8_fp8 v[140:143], a[172:173], a[36:37], v[140:143]// 00000000554C: D3F3008C 1E3249AC
	v_mfma_f32_16x16x32_fp8_fp8 v[140:143], a[174:175], a[38:39], v[140:143]// 000000005554: D3F3008C 1E324DAE
	s_waitcnt vmcnt(18)                                        // 00000000555C: BF8C4F72
	s_barrier                                                  // 000000005560: BF8A0000
	v_mfma_f32_16x16x32_fp8_fp8 v[144:147], a[80:81], a[0:1], v[144:147]// 000000005564: D3F30090 1E420150
	v_mfma_f32_16x16x32_fp8_fp8 v[144:147], a[82:83], a[2:3], v[144:147]// 00000000556C: D3F30090 1E420552
	buffer_load_dwordx4 a[144:147], v60, s[84:87], 0 offen     // 000000005574: E05C1000 8095903C
	v_mfma_f32_16x16x32_fp8_fp8 v[144:147], a[84:85], a[4:5], v[144:147]// 00000000557C: D3F30090 1E420954
	v_mfma_f32_16x16x32_fp8_fp8 v[144:147], a[86:87], a[6:7], v[144:147]// 000000005584: D3F30090 1E420D56
	ds_read_b128 a[40:43], v2 offset:20736                     // 00000000558C: DBFE5100 28000002
	ds_read_b128 a[44:47], v2 offset:20800                     // 000000005594: DBFE5140 2C000002
	v_mfma_f32_16x16x32_fp8_fp8 v[164:167], a[88:89], a[0:1], v[164:167]// 00000000559C: D3F300A4 1E920158
	v_mfma_f32_16x16x32_fp8_fp8 v[164:167], a[90:91], a[2:3], v[164:167]// 0000000055A4: D3F300A4 1E92055A
	buffer_load_dwordx4 a[148:151], v60, s[84:87], 0 offen offset:1024// 0000000055AC: E05C1400 8095943C
	v_mfma_f32_16x16x32_fp8_fp8 v[164:167], a[92:93], a[4:5], v[164:167]// 0000000055B4: D3F300A4 1E92095C
	v_mfma_f32_16x16x32_fp8_fp8 v[164:167], a[94:95], a[6:7], v[164:167]// 0000000055BC: D3F300A4 1E920D5E
	ds_read_b128 a[48:51], v2 offset:21248                     // 0000000055C4: DBFE5300 30000002
	ds_read_b128 a[52:55], v2 offset:21312                     // 0000000055CC: DBFE5340 34000002
	v_mfma_f32_16x16x32_fp8_fp8 v[184:187], a[96:97], a[0:1], v[184:187]// 0000000055D4: D3F300B8 1EE20160
	v_mfma_f32_16x16x32_fp8_fp8 v[184:187], a[98:99], a[2:3], v[184:187]// 0000000055DC: D3F300B8 1EE20562
	buffer_load_dwordx4 a[152:155], v61, s[84:87], 0 offen     // 0000000055E4: E05C1000 8095983D
	v_mfma_f32_16x16x32_fp8_fp8 v[184:187], a[100:101], a[4:5], v[184:187]// 0000000055EC: D3F300B8 1EE20964
	v_mfma_f32_16x16x32_fp8_fp8 v[184:187], a[102:103], a[6:7], v[184:187]// 0000000055F4: D3F300B8 1EE20D66
	ds_read_b128 a[56:59], v2 offset:21760                     // 0000000055FC: DBFE5500 38000002
	ds_read_b128 a[60:63], v2 offset:21824                     // 000000005604: DBFE5540 3C000002
	v_mfma_f32_16x16x32_fp8_fp8 v[204:207], a[104:105], a[0:1], v[204:207]// 00000000560C: D3F300CC 1F320168
	v_mfma_f32_16x16x32_fp8_fp8 v[204:207], a[106:107], a[2:3], v[204:207]// 000000005614: D3F300CC 1F32056A
	buffer_load_dwordx4 a[156:159], v61, s[84:87], 0 offen offset:1024// 00000000561C: E05C1400 80959C3D
	v_mfma_f32_16x16x32_fp8_fp8 v[204:207], a[108:109], a[4:5], v[204:207]// 000000005624: D3F300CC 1F32096C
	v_mfma_f32_16x16x32_fp8_fp8 v[204:207], a[110:111], a[6:7], v[204:207]// 00000000562C: D3F300CC 1F320D6E
	ds_read_b128 a[64:67], v2 offset:22272                     // 000000005634: DBFE5700 40000002
	ds_read_b128 a[68:71], v2 offset:22336                     // 00000000563C: DBFE5740 44000002
	v_mfma_f32_16x16x32_fp8_fp8 v[148:151], a[80:81], a[8:9], v[148:151]// 000000005644: D3F30094 1E521150
	v_mfma_f32_16x16x32_fp8_fp8 v[148:151], a[82:83], a[10:11], v[148:151]// 00000000564C: D3F30094 1E521552
	buffer_load_dwordx4 a[160:163], v62, s[84:87], 0 offen     // 000000005654: E05C1000 8095A03E
	v_mfma_f32_16x16x32_fp8_fp8 v[148:151], a[84:85], a[12:13], v[148:151]// 00000000565C: D3F30094 1E521954
	v_mfma_f32_16x16x32_fp8_fp8 v[148:151], a[86:87], a[14:15], v[148:151]// 000000005664: D3F30094 1E521D56
	ds_read_b128 a[72:75], v2 offset:22784                     // 00000000566C: DBFE5900 48000002
	ds_read_b128 a[76:79], v2 offset:22848                     // 000000005674: DBFE5940 4C000002
	v_mfma_f32_16x16x32_fp8_fp8 v[168:171], a[88:89], a[8:9], v[168:171]// 00000000567C: D3F300A8 1EA21158
	v_mfma_f32_16x16x32_fp8_fp8 v[168:171], a[90:91], a[10:11], v[168:171]// 000000005684: D3F300A8 1EA2155A
	buffer_load_dwordx4 a[164:167], v62, s[84:87], 0 offen offset:1024// 00000000568C: E05C1400 8095A43E
	v_mfma_f32_16x16x32_fp8_fp8 v[168:171], a[92:93], a[12:13], v[168:171]// 000000005694: D3F300A8 1EA2195C
	v_mfma_f32_16x16x32_fp8_fp8 v[168:171], a[94:95], a[14:15], v[168:171]// 00000000569C: D3F300A8 1EA21D5E
	v_mfma_f32_16x16x32_fp8_fp8 v[188:191], a[96:97], a[8:9], v[188:191]// 0000000056A4: D3F300BC 1EF21160
	v_mfma_f32_16x16x32_fp8_fp8 v[188:191], a[98:99], a[10:11], v[188:191]// 0000000056AC: D3F300BC 1EF21562
	buffer_load_dwordx4 a[168:171], v63, s[84:87], 0 offen     // 0000000056B4: E05C1000 8095A83F
	v_mfma_f32_16x16x32_fp8_fp8 v[188:191], a[100:101], a[12:13], v[188:191]// 0000000056BC: D3F300BC 1EF21964
	v_mfma_f32_16x16x32_fp8_fp8 v[188:191], a[102:103], a[14:15], v[188:191]// 0000000056C4: D3F300BC 1EF21D66
	v_mfma_f32_16x16x32_fp8_fp8 v[208:211], a[104:105], a[8:9], v[208:211]// 0000000056CC: D3F300D0 1F421168
	v_mfma_f32_16x16x32_fp8_fp8 v[208:211], a[106:107], a[10:11], v[208:211]// 0000000056D4: D3F300D0 1F42156A
	buffer_load_dwordx4 a[172:175], v63, s[84:87], 0 offen offset:1024// 0000000056DC: E05C1400 8095AC3F
	v_mfma_f32_16x16x32_fp8_fp8 v[208:211], a[108:109], a[12:13], v[208:211]// 0000000056E4: D3F300D0 1F42196C
	v_mfma_f32_16x16x32_fp8_fp8 v[208:211], a[110:111], a[14:15], v[208:211]// 0000000056EC: D3F300D0 1F421D6E
	v_mfma_f32_16x16x32_fp8_fp8 v[152:155], a[80:81], a[16:17], v[152:155]// 0000000056F4: D3F30098 1E622150
	v_mfma_f32_16x16x32_fp8_fp8 v[152:155], a[82:83], a[18:19], v[152:155]// 0000000056FC: D3F30098 1E622552
	v_mfma_f32_16x16x32_fp8_fp8 v[152:155], a[84:85], a[20:21], v[152:155]// 000000005704: D3F30098 1E622954
	v_mfma_f32_16x16x32_fp8_fp8 v[152:155], a[86:87], a[22:23], v[152:155]// 00000000570C: D3F30098 1E622D56
	v_mfma_f32_16x16x32_fp8_fp8 v[172:175], a[88:89], a[16:17], v[172:175]// 000000005714: D3F300AC 1EB22158
	v_mfma_f32_16x16x32_fp8_fp8 v[172:175], a[90:91], a[18:19], v[172:175]// 00000000571C: D3F300AC 1EB2255A
	v_mfma_f32_16x16x32_fp8_fp8 v[172:175], a[92:93], a[20:21], v[172:175]// 000000005724: D3F300AC 1EB2295C
	v_mfma_f32_16x16x32_fp8_fp8 v[172:175], a[94:95], a[22:23], v[172:175]// 00000000572C: D3F300AC 1EB22D5E
	v_mfma_f32_16x16x32_fp8_fp8 v[192:195], a[96:97], a[16:17], v[192:195]// 000000005734: D3F300C0 1F022160
	v_mfma_f32_16x16x32_fp8_fp8 v[192:195], a[98:99], a[18:19], v[192:195]// 00000000573C: D3F300C0 1F022562
	v_mfma_f32_16x16x32_fp8_fp8 v[192:195], a[100:101], a[20:21], v[192:195]// 000000005744: D3F300C0 1F022964
	v_mfma_f32_16x16x32_fp8_fp8 v[192:195], a[102:103], a[22:23], v[192:195]// 00000000574C: D3F300C0 1F022D66
	v_mfma_f32_16x16x32_fp8_fp8 v[212:215], a[104:105], a[16:17], v[212:215]// 000000005754: D3F300D4 1F522168
	v_mfma_f32_16x16x32_fp8_fp8 v[212:215], a[106:107], a[18:19], v[212:215]// 00000000575C: D3F300D4 1F52256A
	v_mfma_f32_16x16x32_fp8_fp8 v[212:215], a[108:109], a[20:21], v[212:215]// 000000005764: D3F300D4 1F52296C
	v_mfma_f32_16x16x32_fp8_fp8 v[212:215], a[110:111], a[22:23], v[212:215]// 00000000576C: D3F300D4 1F522D6E
	v_mfma_f32_16x16x32_fp8_fp8 v[156:159], a[80:81], a[24:25], v[156:159]// 000000005774: D3F3009C 1E723150
	v_mfma_f32_16x16x32_fp8_fp8 v[156:159], a[82:83], a[26:27], v[156:159]// 00000000577C: D3F3009C 1E723552
	v_mfma_f32_16x16x32_fp8_fp8 v[156:159], a[84:85], a[28:29], v[156:159]// 000000005784: D3F3009C 1E723954
	v_mfma_f32_16x16x32_fp8_fp8 v[156:159], a[86:87], a[30:31], v[156:159]// 00000000578C: D3F3009C 1E723D56
	v_mfma_f32_16x16x32_fp8_fp8 v[176:179], a[88:89], a[24:25], v[176:179]// 000000005794: D3F300B0 1EC23158
	v_mfma_f32_16x16x32_fp8_fp8 v[176:179], a[90:91], a[26:27], v[176:179]// 00000000579C: D3F300B0 1EC2355A
	v_mfma_f32_16x16x32_fp8_fp8 v[176:179], a[92:93], a[28:29], v[176:179]// 0000000057A4: D3F300B0 1EC2395C
	v_mfma_f32_16x16x32_fp8_fp8 v[176:179], a[94:95], a[30:31], v[176:179]// 0000000057AC: D3F300B0 1EC23D5E
	v_mfma_f32_16x16x32_fp8_fp8 v[196:199], a[96:97], a[24:25], v[196:199]// 0000000057B4: D3F300C4 1F123160
	v_mfma_f32_16x16x32_fp8_fp8 v[196:199], a[98:99], a[26:27], v[196:199]// 0000000057BC: D3F300C4 1F123562
	v_mfma_f32_16x16x32_fp8_fp8 v[196:199], a[100:101], a[28:29], v[196:199]// 0000000057C4: D3F300C4 1F123964
	v_mfma_f32_16x16x32_fp8_fp8 v[196:199], a[102:103], a[30:31], v[196:199]// 0000000057CC: D3F300C4 1F123D66
	v_mfma_f32_16x16x32_fp8_fp8 v[216:219], a[104:105], a[24:25], v[216:219]// 0000000057D4: D3F300D8 1F623168
	v_mfma_f32_16x16x32_fp8_fp8 v[216:219], a[106:107], a[26:27], v[216:219]// 0000000057DC: D3F300D8 1F62356A
	v_mfma_f32_16x16x32_fp8_fp8 v[216:219], a[108:109], a[28:29], v[216:219]// 0000000057E4: D3F300D8 1F62396C
	v_mfma_f32_16x16x32_fp8_fp8 v[216:219], a[110:111], a[30:31], v[216:219]// 0000000057EC: D3F300D8 1F623D6E
	v_mfma_f32_16x16x32_fp8_fp8 v[160:163], a[80:81], a[32:33], v[160:163]// 0000000057F4: D3F300A0 1E824150
	v_mfma_f32_16x16x32_fp8_fp8 v[160:163], a[82:83], a[34:35], v[160:163]// 0000000057FC: D3F300A0 1E824552
	v_mfma_f32_16x16x32_fp8_fp8 v[160:163], a[84:85], a[36:37], v[160:163]// 000000005804: D3F300A0 1E824954
	v_mfma_f32_16x16x32_fp8_fp8 v[160:163], a[86:87], a[38:39], v[160:163]// 00000000580C: D3F300A0 1E824D56
	v_mfma_f32_16x16x32_fp8_fp8 v[180:183], a[88:89], a[32:33], v[180:183]// 000000005814: D3F300B4 1ED24158
	v_mfma_f32_16x16x32_fp8_fp8 v[180:183], a[90:91], a[34:35], v[180:183]// 00000000581C: D3F300B4 1ED2455A
	v_mfma_f32_16x16x32_fp8_fp8 v[180:183], a[92:93], a[36:37], v[180:183]// 000000005824: D3F300B4 1ED2495C
	v_mfma_f32_16x16x32_fp8_fp8 v[180:183], a[94:95], a[38:39], v[180:183]// 00000000582C: D3F300B4 1ED24D5E
	v_mfma_f32_16x16x32_fp8_fp8 v[200:203], a[96:97], a[32:33], v[200:203]// 000000005834: D3F300C8 1F224160
	s_add_u32 s60, 0x180, s80                                  // 00000000583C: 803C50FF 00000180
	s_cmp_lt_u32 s60, s81                                      // 000000005844: BF0A513C
	s_cselect_b32 s57, s57, 0                                  // 000000005848: 85398039
	v_mfma_f32_16x16x32_fp8_fp8 v[200:203], a[98:99], a[34:35], v[200:203]// 00000000584C: D3F300C8 1F224562
	s_add_u32 s60, 0x100, s80                                  // 000000005854: 803C50FF 00000100
	s_cmp_lt_u32 s60, s81                                      // 00000000585C: BF0A513C
	s_cselect_b32 s58, s58, 0                                  // 000000005860: 853A803A
	v_mfma_f32_16x16x32_fp8_fp8 v[200:203], a[100:101], a[36:37], v[200:203]// 000000005864: D3F300C8 1F224964
	s_add_u32 s60, 0x100, s80                                  // 00000000586C: 803C50FF 00000100
	s_cmp_lt_u32 s60, s81                                      // 000000005874: BF0A513C
	s_cselect_b32 s83, s83, 0                                  // 000000005878: 85538053
	v_mfma_f32_16x16x32_fp8_fp8 v[200:203], a[102:103], a[38:39], v[200:203]// 00000000587C: D3F300C8 1F224D66
	s_add_u32 s24, s58, s24                                    // 000000005884: 8018183A
	s_addc_u32 s25, 0, s25                                     // 000000005888: 82191980
	v_mfma_f32_16x16x32_fp8_fp8 v[220:223], a[104:105], a[32:33], v[220:223]// 00000000588C: D3F300DC 1F724168
	s_add_u32 s20, s57, s20                                    // 000000005894: 80141439
	s_addc_u32 s21, 0, s21                                     // 000000005898: 82151580
	v_mfma_f32_16x16x32_fp8_fp8 v[220:223], a[106:107], a[34:35], v[220:223]// 00000000589C: D3F300DC 1F72456A
	s_add_u32 s84, s83, s84                                    // 0000000058A4: 80545453
	s_addc_u32 s85, 0, s85                                     // 0000000058A8: 82555580
	v_mfma_f32_16x16x32_fp8_fp8 v[220:223], a[108:109], a[36:37], v[220:223]// 0000000058AC: D3F300DC 1F72496C
	v_mfma_f32_16x16x32_fp8_fp8 v[220:223], a[110:111], a[38:39], v[220:223]// 0000000058B4: D3F300DC 1F724D6E
	s_addk_i32 s80, 0x80                                       // 0000000058BC: B7500080
	s_cmp_lt_i32 s80, s81                                      // 0000000058C0: BF045150
	s_cbranch_scc0 label_0D66                                  // 0000000058C4: BF8401B4
	s_waitcnt vmcnt(18) lgkmcnt(0)                             // 0000000058C8: BF8C4072
	v_mfma_f32_16x16x32_fp8_fp8 v[64:67], a[112:113], a[40:41], v[64:67]// 0000000058CC: D3F30040 1D025170
	v_mfma_f32_16x16x32_fp8_fp8 v[64:67], a[114:115], a[42:43], v[64:67]// 0000000058D4: D3F30040 1D025572
	buffer_load_dwordx4 a[80:83], v60, s[24:27], 0 offen       // 0000000058DC: E05C1000 8086503C
	v_mfma_f32_16x16x32_fp8_fp8 v[64:67], a[116:117], a[44:45], v[64:67]// 0000000058E4: D3F30040 1D025974
	v_mfma_f32_16x16x32_fp8_fp8 v[64:67], a[118:119], a[46:47], v[64:67]// 0000000058EC: D3F30040 1D025D76
	v_mfma_f32_16x16x32_fp8_fp8 v[84:87], a[120:121], a[40:41], v[84:87]// 0000000058F4: D3F30054 1D525178
	v_mfma_f32_16x16x32_fp8_fp8 v[84:87], a[122:123], a[42:43], v[84:87]// 0000000058FC: D3F30054 1D52557A
	buffer_load_dwordx4 a[84:87], v60, s[24:27], 0 offen offset:1024// 000000005904: E05C1400 8086543C
	v_mfma_f32_16x16x32_fp8_fp8 v[84:87], a[124:125], a[44:45], v[84:87]// 00000000590C: D3F30054 1D52597C
	v_mfma_f32_16x16x32_fp8_fp8 v[84:87], a[126:127], a[46:47], v[84:87]// 000000005914: D3F30054 1D525D7E
	v_mfma_f32_16x16x32_fp8_fp8 v[104:107], a[128:129], a[40:41], v[104:107]// 00000000591C: D3F30068 1DA25180
	v_mfma_f32_16x16x32_fp8_fp8 v[104:107], a[130:131], a[42:43], v[104:107]// 000000005924: D3F30068 1DA25582
	buffer_load_dwordx4 a[88:91], v61, s[24:27], 0 offen       // 00000000592C: E05C1000 8086583D
	v_mfma_f32_16x16x32_fp8_fp8 v[104:107], a[132:133], a[44:45], v[104:107]// 000000005934: D3F30068 1DA25984
	v_mfma_f32_16x16x32_fp8_fp8 v[104:107], a[134:135], a[46:47], v[104:107]// 00000000593C: D3F30068 1DA25D86
	v_mfma_f32_16x16x32_fp8_fp8 v[124:127], a[136:137], a[40:41], v[124:127]// 000000005944: D3F3007C 1DF25188
	v_mfma_f32_16x16x32_fp8_fp8 v[124:127], a[138:139], a[42:43], v[124:127]// 00000000594C: D3F3007C 1DF2558A
	buffer_load_dwordx4 a[92:95], v61, s[24:27], 0 offen offset:1024// 000000005954: E05C1400 80865C3D
	v_mfma_f32_16x16x32_fp8_fp8 v[124:127], a[140:141], a[44:45], v[124:127]// 00000000595C: D3F3007C 1DF2598C
	v_mfma_f32_16x16x32_fp8_fp8 v[124:127], a[142:143], a[46:47], v[124:127]// 000000005964: D3F3007C 1DF25D8E
	v_mfma_f32_16x16x32_fp8_fp8 v[68:71], a[112:113], a[48:49], v[68:71]// 00000000596C: D3F30044 1D126170
	v_mfma_f32_16x16x32_fp8_fp8 v[68:71], a[114:115], a[50:51], v[68:71]// 000000005974: D3F30044 1D126572
	buffer_load_dwordx4 a[96:99], v62, s[24:27], 0 offen       // 00000000597C: E05C1000 8086603E
	v_mfma_f32_16x16x32_fp8_fp8 v[68:71], a[116:117], a[52:53], v[68:71]// 000000005984: D3F30044 1D126974
	v_mfma_f32_16x16x32_fp8_fp8 v[68:71], a[118:119], a[54:55], v[68:71]// 00000000598C: D3F30044 1D126D76
	v_mfma_f32_16x16x32_fp8_fp8 v[88:91], a[120:121], a[48:49], v[88:91]// 000000005994: D3F30058 1D626178
	v_mfma_f32_16x16x32_fp8_fp8 v[88:91], a[122:123], a[50:51], v[88:91]// 00000000599C: D3F30058 1D62657A
	buffer_load_dwordx4 a[100:103], v62, s[24:27], 0 offen offset:1024// 0000000059A4: E05C1400 8086643E
	v_mfma_f32_16x16x32_fp8_fp8 v[88:91], a[124:125], a[52:53], v[88:91]// 0000000059AC: D3F30058 1D62697C
	v_mfma_f32_16x16x32_fp8_fp8 v[88:91], a[126:127], a[54:55], v[88:91]// 0000000059B4: D3F30058 1D626D7E
	v_mfma_f32_16x16x32_fp8_fp8 v[108:111], a[128:129], a[48:49], v[108:111]// 0000000059BC: D3F3006C 1DB26180
	v_mfma_f32_16x16x32_fp8_fp8 v[108:111], a[130:131], a[50:51], v[108:111]// 0000000059C4: D3F3006C 1DB26582
	buffer_load_dwordx4 a[104:107], v63, s[24:27], 0 offen     // 0000000059CC: E05C1000 8086683F
	v_mfma_f32_16x16x32_fp8_fp8 v[108:111], a[132:133], a[52:53], v[108:111]// 0000000059D4: D3F3006C 1DB26984
	v_mfma_f32_16x16x32_fp8_fp8 v[108:111], a[134:135], a[54:55], v[108:111]// 0000000059DC: D3F3006C 1DB26D86
	v_mfma_f32_16x16x32_fp8_fp8 v[128:131], a[136:137], a[48:49], v[128:131]// 0000000059E4: D3F30080 1E026188
	v_mfma_f32_16x16x32_fp8_fp8 v[128:131], a[138:139], a[50:51], v[128:131]// 0000000059EC: D3F30080 1E02658A
	buffer_load_dwordx4 a[108:111], v63, s[24:27], 0 offen offset:1024// 0000000059F4: E05C1400 80866C3F
	buffer_load_dword v50, s[20:23], 0 offen lds               // 0000000059FC: E0511000 80050032
	s_add_u32 m0, 0x100, s49                                   // 000000005A04: 807C31FF 00000100
	v_mfma_f32_16x16x32_fp8_fp8 v[128:131], a[140:141], a[52:53], v[128:131]// 000000005A0C: D3F30080 1E02698C
	v_mfma_f32_16x16x32_fp8_fp8 v[128:131], a[142:143], a[54:55], v[128:131]// 000000005A14: D3F30080 1E026D8E
	buffer_load_dword v51, s[20:23], 0 offen lds               // 000000005A1C: E0511000 80050033
	s_add_u32 m0, 0x200, s49                                   // 000000005A24: 807C31FF 00000200
	v_mfma_f32_16x16x32_fp8_fp8 v[72:75], a[112:113], a[56:57], v[72:75]// 000000005A2C: D3F30048 1D227170
	v_mfma_f32_16x16x32_fp8_fp8 v[72:75], a[114:115], a[58:59], v[72:75]// 000000005A34: D3F30048 1D227572
	buffer_load_dword v52, s[20:23], 0 offen lds               // 000000005A3C: E0511000 80050034
	s_add_u32 m0, 0x300, s49                                   // 000000005A44: 807C31FF 00000300
	v_mfma_f32_16x16x32_fp8_fp8 v[72:75], a[116:117], a[60:61], v[72:75]// 000000005A4C: D3F30048 1D227974
	v_mfma_f32_16x16x32_fp8_fp8 v[72:75], a[118:119], a[62:63], v[72:75]// 000000005A54: D3F30048 1D227D76
	buffer_load_dword v53, s[20:23], 0 offen lds               // 000000005A5C: E0511000 80050035
	s_add_u32 m0, 0x400, s49                                   // 000000005A64: 807C31FF 00000400
	v_mfma_f32_16x16x32_fp8_fp8 v[92:95], a[120:121], a[56:57], v[92:95]// 000000005A6C: D3F3005C 1D727178
	v_mfma_f32_16x16x32_fp8_fp8 v[92:95], a[122:123], a[58:59], v[92:95]// 000000005A74: D3F3005C 1D72757A
	buffer_load_dword v54, s[20:23], 0 offen lds               // 000000005A7C: E0511000 80050036
	s_add_u32 m0, 0x500, s49                                   // 000000005A84: 807C31FF 00000500
	v_mfma_f32_16x16x32_fp8_fp8 v[92:95], a[124:125], a[60:61], v[92:95]// 000000005A8C: D3F3005C 1D72797C
	v_mfma_f32_16x16x32_fp8_fp8 v[92:95], a[126:127], a[62:63], v[92:95]// 000000005A94: D3F3005C 1D727D7E
	buffer_load_dword v55, s[20:23], 0 offen lds               // 000000005A9C: E0511000 80050037
	s_add_u32 m0, 0x600, s49                                   // 000000005AA4: 807C31FF 00000600
	v_mfma_f32_16x16x32_fp8_fp8 v[112:115], a[128:129], a[56:57], v[112:115]// 000000005AAC: D3F30070 1DC27180
	v_mfma_f32_16x16x32_fp8_fp8 v[112:115], a[130:131], a[58:59], v[112:115]// 000000005AB4: D3F30070 1DC27582
	buffer_load_dword v56, s[20:23], 0 offen lds               // 000000005ABC: E0511000 80050038
	s_add_u32 m0, 0x700, s49                                   // 000000005AC4: 807C31FF 00000700
	v_mfma_f32_16x16x32_fp8_fp8 v[112:115], a[132:133], a[60:61], v[112:115]// 000000005ACC: D3F30070 1DC27984
	v_mfma_f32_16x16x32_fp8_fp8 v[112:115], a[134:135], a[62:63], v[112:115]// 000000005AD4: D3F30070 1DC27D86
	buffer_load_dword v57, s[20:23], 0 offen lds               // 000000005ADC: E0511000 80050039
	s_add_u32 m0, 0x800, s49                                   // 000000005AE4: 807C31FF 00000800
	v_mfma_f32_16x16x32_fp8_fp8 v[132:135], a[136:137], a[56:57], v[132:135]// 000000005AEC: D3F30084 1E127188
	v_mfma_f32_16x16x32_fp8_fp8 v[132:135], a[138:139], a[58:59], v[132:135]// 000000005AF4: D3F30084 1E12758A
	buffer_load_dword v58, s[20:23], 0 offen lds               // 000000005AFC: E0511000 8005003A
	s_add_u32 m0, 0x900, s49                                   // 000000005B04: 807C31FF 00000900
	v_mfma_f32_16x16x32_fp8_fp8 v[132:135], a[140:141], a[60:61], v[132:135]// 000000005B0C: D3F30084 1E12798C
	v_mfma_f32_16x16x32_fp8_fp8 v[132:135], a[142:143], a[62:63], v[132:135]// 000000005B14: D3F30084 1E127D8E
	buffer_load_dword v59, s[20:23], 0 offen lds               // 000000005B1C: E0511000 8005003B
	s_add_u32 m0, 0, s50                                       // 000000005B24: 807C3280
	v_mfma_f32_16x16x32_fp8_fp8 v[76:79], a[112:113], a[64:65], v[76:79]// 000000005B28: D3F3004C 1D328170
	v_mfma_f32_16x16x32_fp8_fp8 v[76:79], a[114:115], a[66:67], v[76:79]// 000000005B30: D3F3004C 1D328572
	v_mfma_f32_16x16x32_fp8_fp8 v[76:79], a[116:117], a[68:69], v[76:79]// 000000005B38: D3F3004C 1D328974
	v_mfma_f32_16x16x32_fp8_fp8 v[76:79], a[118:119], a[70:71], v[76:79]// 000000005B40: D3F3004C 1D328D76
	v_mfma_f32_16x16x32_fp8_fp8 v[96:99], a[120:121], a[64:65], v[96:99]// 000000005B48: D3F30060 1D828178
	v_mfma_f32_16x16x32_fp8_fp8 v[96:99], a[122:123], a[66:67], v[96:99]// 000000005B50: D3F30060 1D82857A
	v_mfma_f32_16x16x32_fp8_fp8 v[96:99], a[124:125], a[68:69], v[96:99]// 000000005B58: D3F30060 1D82897C
	v_mfma_f32_16x16x32_fp8_fp8 v[96:99], a[126:127], a[70:71], v[96:99]// 000000005B60: D3F30060 1D828D7E
	v_mfma_f32_16x16x32_fp8_fp8 v[116:119], a[128:129], a[64:65], v[116:119]// 000000005B68: D3F30074 1DD28180
	v_mfma_f32_16x16x32_fp8_fp8 v[116:119], a[130:131], a[66:67], v[116:119]// 000000005B70: D3F30074 1DD28582
	v_mfma_f32_16x16x32_fp8_fp8 v[116:119], a[132:133], a[68:69], v[116:119]// 000000005B78: D3F30074 1DD28984
	v_mfma_f32_16x16x32_fp8_fp8 v[116:119], a[134:135], a[70:71], v[116:119]// 000000005B80: D3F30074 1DD28D86
	v_mfma_f32_16x16x32_fp8_fp8 v[136:139], a[136:137], a[64:65], v[136:139]// 000000005B88: D3F30088 1E228188
	v_mfma_f32_16x16x32_fp8_fp8 v[136:139], a[138:139], a[66:67], v[136:139]// 000000005B90: D3F30088 1E22858A
	v_mfma_f32_16x16x32_fp8_fp8 v[136:139], a[140:141], a[68:69], v[136:139]// 000000005B98: D3F30088 1E22898C
	v_mfma_f32_16x16x32_fp8_fp8 v[136:139], a[142:143], a[70:71], v[136:139]// 000000005BA0: D3F30088 1E228D8E
	v_mfma_f32_16x16x32_fp8_fp8 v[80:83], a[112:113], a[72:73], v[80:83]// 000000005BA8: D3F30050 1D429170
	v_mfma_f32_16x16x32_fp8_fp8 v[80:83], a[114:115], a[74:75], v[80:83]// 000000005BB0: D3F30050 1D429572
	v_mfma_f32_16x16x32_fp8_fp8 v[80:83], a[116:117], a[76:77], v[80:83]// 000000005BB8: D3F30050 1D429974
	v_mfma_f32_16x16x32_fp8_fp8 v[80:83], a[118:119], a[78:79], v[80:83]// 000000005BC0: D3F30050 1D429D76
	v_mfma_f32_16x16x32_fp8_fp8 v[100:103], a[120:121], a[72:73], v[100:103]// 000000005BC8: D3F30064 1D929178
	v_mfma_f32_16x16x32_fp8_fp8 v[100:103], a[122:123], a[74:75], v[100:103]// 000000005BD0: D3F30064 1D92957A
	v_mfma_f32_16x16x32_fp8_fp8 v[100:103], a[124:125], a[76:77], v[100:103]// 000000005BD8: D3F30064 1D92997C
	v_mfma_f32_16x16x32_fp8_fp8 v[100:103], a[126:127], a[78:79], v[100:103]// 000000005BE0: D3F30064 1D929D7E
	v_mfma_f32_16x16x32_fp8_fp8 v[120:123], a[128:129], a[72:73], v[120:123]// 000000005BE8: D3F30078 1DE29180
	v_mfma_f32_16x16x32_fp8_fp8 v[120:123], a[130:131], a[74:75], v[120:123]// 000000005BF0: D3F30078 1DE29582
	v_mfma_f32_16x16x32_fp8_fp8 v[120:123], a[132:133], a[76:77], v[120:123]// 000000005BF8: D3F30078 1DE29984
	v_mfma_f32_16x16x32_fp8_fp8 v[120:123], a[134:135], a[78:79], v[120:123]// 000000005C00: D3F30078 1DE29D86
	v_mfma_f32_16x16x32_fp8_fp8 v[140:143], a[136:137], a[72:73], v[140:143]// 000000005C08: D3F3008C 1E329188
	v_mfma_f32_16x16x32_fp8_fp8 v[140:143], a[138:139], a[74:75], v[140:143]// 000000005C10: D3F3008C 1E32958A
	v_mfma_f32_16x16x32_fp8_fp8 v[140:143], a[140:141], a[76:77], v[140:143]// 000000005C18: D3F3008C 1E32998C
	v_mfma_f32_16x16x32_fp8_fp8 v[140:143], a[142:143], a[78:79], v[140:143]// 000000005C20: D3F3008C 1E329D8E
	s_waitcnt vmcnt(18)                                        // 000000005C28: BF8C4F72
	s_barrier                                                  // 000000005C2C: BF8A0000
	v_mfma_f32_16x16x32_fp8_fp8 v[144:147], a[144:145], a[40:41], v[144:147]// 000000005C30: D3F30090 1E425190
	v_mfma_f32_16x16x32_fp8_fp8 v[144:147], a[146:147], a[42:43], v[144:147]// 000000005C38: D3F30090 1E425592
	buffer_load_dwordx4 a[112:115], v60, s[84:87], 0 offen     // 000000005C40: E05C1000 8095703C
	v_mfma_f32_16x16x32_fp8_fp8 v[144:147], a[148:149], a[44:45], v[144:147]// 000000005C48: D3F30090 1E425994
	v_mfma_f32_16x16x32_fp8_fp8 v[144:147], a[150:151], a[46:47], v[144:147]// 000000005C50: D3F30090 1E425D96
	ds_read_b128 a[0:3], v2                                    // 000000005C58: DBFE0000 00000002
	ds_read_b128 a[4:7], v2 offset:64                          // 000000005C60: DBFE0040 04000002
	v_mfma_f32_16x16x32_fp8_fp8 v[164:167], a[152:153], a[40:41], v[164:167]// 000000005C68: D3F300A4 1E925198
	v_mfma_f32_16x16x32_fp8_fp8 v[164:167], a[154:155], a[42:43], v[164:167]// 000000005C70: D3F300A4 1E92559A
	buffer_load_dwordx4 a[116:119], v60, s[84:87], 0 offen offset:1024// 000000005C78: E05C1400 8095743C
	v_mfma_f32_16x16x32_fp8_fp8 v[164:167], a[156:157], a[44:45], v[164:167]// 000000005C80: D3F300A4 1E92599C
	v_mfma_f32_16x16x32_fp8_fp8 v[164:167], a[158:159], a[46:47], v[164:167]// 000000005C88: D3F300A4 1E925D9E
	ds_read_b128 a[8:11], v2 offset:512                        // 000000005C90: DBFE0200 08000002
	ds_read_b128 a[12:15], v2 offset:576                       // 000000005C98: DBFE0240 0C000002
	v_mfma_f32_16x16x32_fp8_fp8 v[184:187], a[160:161], a[40:41], v[184:187]// 000000005CA0: D3F300B8 1EE251A0
	v_mfma_f32_16x16x32_fp8_fp8 v[184:187], a[162:163], a[42:43], v[184:187]// 000000005CA8: D3F300B8 1EE255A2
	buffer_load_dwordx4 a[120:123], v61, s[84:87], 0 offen     // 000000005CB0: E05C1000 8095783D
	v_mfma_f32_16x16x32_fp8_fp8 v[184:187], a[164:165], a[44:45], v[184:187]// 000000005CB8: D3F300B8 1EE259A4
	v_mfma_f32_16x16x32_fp8_fp8 v[184:187], a[166:167], a[46:47], v[184:187]// 000000005CC0: D3F300B8 1EE25DA6
	ds_read_b128 a[16:19], v2 offset:1024                      // 000000005CC8: DBFE0400 10000002
	ds_read_b128 a[20:23], v2 offset:1088                      // 000000005CD0: DBFE0440 14000002
	v_mfma_f32_16x16x32_fp8_fp8 v[204:207], a[168:169], a[40:41], v[204:207]// 000000005CD8: D3F300CC 1F3251A8
	v_mfma_f32_16x16x32_fp8_fp8 v[204:207], a[170:171], a[42:43], v[204:207]// 000000005CE0: D3F300CC 1F3255AA
	buffer_load_dwordx4 a[124:127], v61, s[84:87], 0 offen offset:1024// 000000005CE8: E05C1400 80957C3D
	v_mfma_f32_16x16x32_fp8_fp8 v[204:207], a[172:173], a[44:45], v[204:207]// 000000005CF0: D3F300CC 1F3259AC
	v_mfma_f32_16x16x32_fp8_fp8 v[204:207], a[174:175], a[46:47], v[204:207]// 000000005CF8: D3F300CC 1F325DAE
	ds_read_b128 a[24:27], v2 offset:1536                      // 000000005D00: DBFE0600 18000002
	ds_read_b128 a[28:31], v2 offset:1600                      // 000000005D08: DBFE0640 1C000002
	v_mfma_f32_16x16x32_fp8_fp8 v[148:151], a[144:145], a[48:49], v[148:151]// 000000005D10: D3F30094 1E526190
	v_mfma_f32_16x16x32_fp8_fp8 v[148:151], a[146:147], a[50:51], v[148:151]// 000000005D18: D3F30094 1E526592
	buffer_load_dwordx4 a[128:131], v62, s[84:87], 0 offen     // 000000005D20: E05C1000 8095803E
	v_mfma_f32_16x16x32_fp8_fp8 v[148:151], a[148:149], a[52:53], v[148:151]// 000000005D28: D3F30094 1E526994
	v_mfma_f32_16x16x32_fp8_fp8 v[148:151], a[150:151], a[54:55], v[148:151]// 000000005D30: D3F30094 1E526D96
	ds_read_b128 a[32:35], v2 offset:2048                      // 000000005D38: DBFE0800 20000002
	ds_read_b128 a[36:39], v2 offset:2112                      // 000000005D40: DBFE0840 24000002
	v_mfma_f32_16x16x32_fp8_fp8 v[168:171], a[152:153], a[48:49], v[168:171]// 000000005D48: D3F300A8 1EA26198
	v_mfma_f32_16x16x32_fp8_fp8 v[168:171], a[154:155], a[50:51], v[168:171]// 000000005D50: D3F300A8 1EA2659A
	buffer_load_dwordx4 a[132:135], v62, s[84:87], 0 offen offset:1024// 000000005D58: E05C1400 8095843E
	v_mfma_f32_16x16x32_fp8_fp8 v[168:171], a[156:157], a[52:53], v[168:171]// 000000005D60: D3F300A8 1EA2699C
	v_mfma_f32_16x16x32_fp8_fp8 v[168:171], a[158:159], a[54:55], v[168:171]// 000000005D68: D3F300A8 1EA26D9E
	v_mfma_f32_16x16x32_fp8_fp8 v[188:191], a[160:161], a[48:49], v[188:191]// 000000005D70: D3F300BC 1EF261A0
	v_mfma_f32_16x16x32_fp8_fp8 v[188:191], a[162:163], a[50:51], v[188:191]// 000000005D78: D3F300BC 1EF265A2
	buffer_load_dwordx4 a[136:139], v63, s[84:87], 0 offen     // 000000005D80: E05C1000 8095883F
	v_mfma_f32_16x16x32_fp8_fp8 v[188:191], a[164:165], a[52:53], v[188:191]// 000000005D88: D3F300BC 1EF269A4
	v_mfma_f32_16x16x32_fp8_fp8 v[188:191], a[166:167], a[54:55], v[188:191]// 000000005D90: D3F300BC 1EF26DA6
	v_mfma_f32_16x16x32_fp8_fp8 v[208:211], a[168:169], a[48:49], v[208:211]// 000000005D98: D3F300D0 1F4261A8
	v_mfma_f32_16x16x32_fp8_fp8 v[208:211], a[170:171], a[50:51], v[208:211]// 000000005DA0: D3F300D0 1F4265AA
	buffer_load_dwordx4 a[140:143], v63, s[84:87], 0 offen offset:1024// 000000005DA8: E05C1400 80958C3F
	v_mfma_f32_16x16x32_fp8_fp8 v[208:211], a[172:173], a[52:53], v[208:211]// 000000005DB0: D3F300D0 1F4269AC
	v_mfma_f32_16x16x32_fp8_fp8 v[208:211], a[174:175], a[54:55], v[208:211]// 000000005DB8: D3F300D0 1F426DAE
	v_mfma_f32_16x16x32_fp8_fp8 v[152:155], a[144:145], a[56:57], v[152:155]// 000000005DC0: D3F30098 1E627190
	v_mfma_f32_16x16x32_fp8_fp8 v[152:155], a[146:147], a[58:59], v[152:155]// 000000005DC8: D3F30098 1E627592
	v_mfma_f32_16x16x32_fp8_fp8 v[152:155], a[148:149], a[60:61], v[152:155]// 000000005DD0: D3F30098 1E627994
	v_mfma_f32_16x16x32_fp8_fp8 v[152:155], a[150:151], a[62:63], v[152:155]// 000000005DD8: D3F30098 1E627D96
	v_mfma_f32_16x16x32_fp8_fp8 v[172:175], a[152:153], a[56:57], v[172:175]// 000000005DE0: D3F300AC 1EB27198
	v_mfma_f32_16x16x32_fp8_fp8 v[172:175], a[154:155], a[58:59], v[172:175]// 000000005DE8: D3F300AC 1EB2759A
	v_mfma_f32_16x16x32_fp8_fp8 v[172:175], a[156:157], a[60:61], v[172:175]// 000000005DF0: D3F300AC 1EB2799C
	v_mfma_f32_16x16x32_fp8_fp8 v[172:175], a[158:159], a[62:63], v[172:175]// 000000005DF8: D3F300AC 1EB27D9E
	v_mfma_f32_16x16x32_fp8_fp8 v[192:195], a[160:161], a[56:57], v[192:195]// 000000005E00: D3F300C0 1F0271A0
	v_mfma_f32_16x16x32_fp8_fp8 v[192:195], a[162:163], a[58:59], v[192:195]// 000000005E08: D3F300C0 1F0275A2
	v_mfma_f32_16x16x32_fp8_fp8 v[192:195], a[164:165], a[60:61], v[192:195]// 000000005E10: D3F300C0 1F0279A4
	v_mfma_f32_16x16x32_fp8_fp8 v[192:195], a[166:167], a[62:63], v[192:195]// 000000005E18: D3F300C0 1F027DA6
	v_mfma_f32_16x16x32_fp8_fp8 v[212:215], a[168:169], a[56:57], v[212:215]// 000000005E20: D3F300D4 1F5271A8
	v_mfma_f32_16x16x32_fp8_fp8 v[212:215], a[170:171], a[58:59], v[212:215]// 000000005E28: D3F300D4 1F5275AA
	v_mfma_f32_16x16x32_fp8_fp8 v[212:215], a[172:173], a[60:61], v[212:215]// 000000005E30: D3F300D4 1F5279AC
	v_mfma_f32_16x16x32_fp8_fp8 v[212:215], a[174:175], a[62:63], v[212:215]// 000000005E38: D3F300D4 1F527DAE
	v_mfma_f32_16x16x32_fp8_fp8 v[156:159], a[144:145], a[64:65], v[156:159]// 000000005E40: D3F3009C 1E728190
	v_mfma_f32_16x16x32_fp8_fp8 v[156:159], a[146:147], a[66:67], v[156:159]// 000000005E48: D3F3009C 1E728592
	v_mfma_f32_16x16x32_fp8_fp8 v[156:159], a[148:149], a[68:69], v[156:159]// 000000005E50: D3F3009C 1E728994
	v_mfma_f32_16x16x32_fp8_fp8 v[156:159], a[150:151], a[70:71], v[156:159]// 000000005E58: D3F3009C 1E728D96
	v_mfma_f32_16x16x32_fp8_fp8 v[176:179], a[152:153], a[64:65], v[176:179]// 000000005E60: D3F300B0 1EC28198
	v_mfma_f32_16x16x32_fp8_fp8 v[176:179], a[154:155], a[66:67], v[176:179]// 000000005E68: D3F300B0 1EC2859A
	v_mfma_f32_16x16x32_fp8_fp8 v[176:179], a[156:157], a[68:69], v[176:179]// 000000005E70: D3F300B0 1EC2899C
	v_mfma_f32_16x16x32_fp8_fp8 v[176:179], a[158:159], a[70:71], v[176:179]// 000000005E78: D3F300B0 1EC28D9E
	v_mfma_f32_16x16x32_fp8_fp8 v[196:199], a[160:161], a[64:65], v[196:199]// 000000005E80: D3F300C4 1F1281A0
	v_mfma_f32_16x16x32_fp8_fp8 v[196:199], a[162:163], a[66:67], v[196:199]// 000000005E88: D3F300C4 1F1285A2
	v_mfma_f32_16x16x32_fp8_fp8 v[196:199], a[164:165], a[68:69], v[196:199]// 000000005E90: D3F300C4 1F1289A4
	v_mfma_f32_16x16x32_fp8_fp8 v[196:199], a[166:167], a[70:71], v[196:199]// 000000005E98: D3F300C4 1F128DA6
	v_mfma_f32_16x16x32_fp8_fp8 v[216:219], a[168:169], a[64:65], v[216:219]// 000000005EA0: D3F300D8 1F6281A8
	v_mfma_f32_16x16x32_fp8_fp8 v[216:219], a[170:171], a[66:67], v[216:219]// 000000005EA8: D3F300D8 1F6285AA
	v_mfma_f32_16x16x32_fp8_fp8 v[216:219], a[172:173], a[68:69], v[216:219]// 000000005EB0: D3F300D8 1F6289AC
	v_mfma_f32_16x16x32_fp8_fp8 v[216:219], a[174:175], a[70:71], v[216:219]// 000000005EB8: D3F300D8 1F628DAE
	v_mfma_f32_16x16x32_fp8_fp8 v[160:163], a[144:145], a[72:73], v[160:163]// 000000005EC0: D3F300A0 1E829190
	v_mfma_f32_16x16x32_fp8_fp8 v[160:163], a[146:147], a[74:75], v[160:163]// 000000005EC8: D3F300A0 1E829592
	v_mfma_f32_16x16x32_fp8_fp8 v[160:163], a[148:149], a[76:77], v[160:163]// 000000005ED0: D3F300A0 1E829994
	v_mfma_f32_16x16x32_fp8_fp8 v[160:163], a[150:151], a[78:79], v[160:163]// 000000005ED8: D3F300A0 1E829D96
	v_mfma_f32_16x16x32_fp8_fp8 v[180:183], a[152:153], a[72:73], v[180:183]// 000000005EE0: D3F300B4 1ED29198
	v_mfma_f32_16x16x32_fp8_fp8 v[180:183], a[154:155], a[74:75], v[180:183]// 000000005EE8: D3F300B4 1ED2959A
	v_mfma_f32_16x16x32_fp8_fp8 v[180:183], a[156:157], a[76:77], v[180:183]// 000000005EF0: D3F300B4 1ED2999C
	v_mfma_f32_16x16x32_fp8_fp8 v[180:183], a[158:159], a[78:79], v[180:183]// 000000005EF8: D3F300B4 1ED29D9E
	v_mfma_f32_16x16x32_fp8_fp8 v[200:203], a[160:161], a[72:73], v[200:203]// 000000005F00: D3F300C8 1F2291A0
	s_add_u32 s60, 0x180, s80                                  // 000000005F08: 803C50FF 00000180
	s_cmp_lt_u32 s60, s81                                      // 000000005F10: BF0A513C
	s_cselect_b32 s57, s57, 0                                  // 000000005F14: 85398039
	v_mfma_f32_16x16x32_fp8_fp8 v[200:203], a[162:163], a[74:75], v[200:203]// 000000005F18: D3F300C8 1F2295A2
	s_add_u32 s60, 0x100, s80                                  // 000000005F20: 803C50FF 00000100
	s_cmp_lt_u32 s60, s81                                      // 000000005F28: BF0A513C
	s_cselect_b32 s58, s58, 0                                  // 000000005F2C: 853A803A
	v_mfma_f32_16x16x32_fp8_fp8 v[200:203], a[164:165], a[76:77], v[200:203]// 000000005F30: D3F300C8 1F2299A4
	s_add_u32 s60, 0x100, s80                                  // 000000005F38: 803C50FF 00000100
	s_cmp_lt_u32 s60, s81                                      // 000000005F40: BF0A513C
	s_cselect_b32 s83, s83, 0                                  // 000000005F44: 85538053
	v_mfma_f32_16x16x32_fp8_fp8 v[200:203], a[166:167], a[78:79], v[200:203]// 000000005F48: D3F300C8 1F229DA6
	s_add_u32 s24, s58, s24                                    // 000000005F50: 8018183A
	s_addc_u32 s25, 0, s25                                     // 000000005F54: 82191980
	v_mfma_f32_16x16x32_fp8_fp8 v[220:223], a[168:169], a[72:73], v[220:223]// 000000005F58: D3F300DC 1F7291A8
	s_add_u32 s20, s57, s20                                    // 000000005F60: 80141439
	s_addc_u32 s21, 0, s21                                     // 000000005F64: 82151580
	v_mfma_f32_16x16x32_fp8_fp8 v[220:223], a[170:171], a[74:75], v[220:223]// 000000005F68: D3F300DC 1F7295AA
	s_add_u32 s84, s83, s84                                    // 000000005F70: 80545453
	s_addc_u32 s85, 0, s85                                     // 000000005F74: 82555580
	v_mfma_f32_16x16x32_fp8_fp8 v[220:223], a[172:173], a[76:77], v[220:223]// 000000005F78: D3F300DC 1F7299AC
	v_mfma_f32_16x16x32_fp8_fp8 v[220:223], a[174:175], a[78:79], v[220:223]// 000000005F80: D3F300DC 1F729DAE
	s_addk_i32 s80, 0x80                                       // 000000005F88: B7500080
	s_cmp_lt_i32 s80, s81                                      // 000000005F8C: BF045150
	s_cbranch_scc0 label_0D66                                  // 000000005F90: BF840001
	s_branch label_0333                                        // 000000005F94: BF82F5CD

0000000000005f98 <label_0D66>:
	v_mul_f32_dpp v64, v24, v64 row_newbcast:0 row_mask:0xf bank_mask:0xf// 000000005F98: 0A8080FA FF015018
	v_mul_f32_dpp v65, v24, v65 row_newbcast:1 row_mask:0xf bank_mask:0xf// 000000005FA0: 0A8282FA FF015118
	v_mul_f32_dpp v66, v24, v66 row_newbcast:2 row_mask:0xf bank_mask:0xf// 000000005FA8: 0A8484FA FF015218
	v_mul_f32_dpp v67, v24, v67 row_newbcast:3 row_mask:0xf bank_mask:0xf// 000000005FB0: 0A8686FA FF015318
	v_mul_f32_dpp v68, v24, v68 row_newbcast:0 row_mask:0xf bank_mask:0xf// 000000005FB8: 0A8888FA FF015018
	v_mul_f32_dpp v69, v24, v69 row_newbcast:1 row_mask:0xf bank_mask:0xf// 000000005FC0: 0A8A8AFA FF015118
	v_mul_f32_dpp v70, v24, v70 row_newbcast:2 row_mask:0xf bank_mask:0xf// 000000005FC8: 0A8C8CFA FF015218
	v_mul_f32_dpp v71, v24, v71 row_newbcast:3 row_mask:0xf bank_mask:0xf// 000000005FD0: 0A8E8EFA FF015318
	v_mul_f32_dpp v72, v24, v72 row_newbcast:0 row_mask:0xf bank_mask:0xf// 000000005FD8: 0A9090FA FF015018
	v_mul_f32_dpp v73, v24, v73 row_newbcast:1 row_mask:0xf bank_mask:0xf// 000000005FE0: 0A9292FA FF015118
	v_mul_f32_dpp v74, v24, v74 row_newbcast:2 row_mask:0xf bank_mask:0xf// 000000005FE8: 0A9494FA FF015218
	v_mul_f32_dpp v75, v24, v75 row_newbcast:3 row_mask:0xf bank_mask:0xf// 000000005FF0: 0A9696FA FF015318
	v_mul_f32_dpp v76, v24, v76 row_newbcast:0 row_mask:0xf bank_mask:0xf// 000000005FF8: 0A9898FA FF015018
	v_mul_f32_dpp v77, v24, v77 row_newbcast:1 row_mask:0xf bank_mask:0xf// 000000006000: 0A9A9AFA FF015118
	v_mul_f32_dpp v78, v24, v78 row_newbcast:2 row_mask:0xf bank_mask:0xf// 000000006008: 0A9C9CFA FF015218
	v_mul_f32_dpp v79, v24, v79 row_newbcast:3 row_mask:0xf bank_mask:0xf// 000000006010: 0A9E9EFA FF015318
	v_mul_f32_dpp v80, v24, v80 row_newbcast:0 row_mask:0xf bank_mask:0xf// 000000006018: 0AA0A0FA FF015018
	v_mul_f32_dpp v81, v24, v81 row_newbcast:1 row_mask:0xf bank_mask:0xf// 000000006020: 0AA2A2FA FF015118
	v_mul_f32_dpp v82, v24, v82 row_newbcast:2 row_mask:0xf bank_mask:0xf// 000000006028: 0AA4A4FA FF015218
	v_mul_f32_dpp v83, v24, v83 row_newbcast:3 row_mask:0xf bank_mask:0xf// 000000006030: 0AA6A6FA FF015318
	v_mul_f32_dpp v84, v24, v84 row_newbcast:4 row_mask:0xf bank_mask:0xf// 000000006038: 0AA8A8FA FF015418
	v_mul_f32_dpp v85, v24, v85 row_newbcast:5 row_mask:0xf bank_mask:0xf// 000000006040: 0AAAAAFA FF015518
	v_mul_f32_dpp v86, v24, v86 row_newbcast:6 row_mask:0xf bank_mask:0xf// 000000006048: 0AACACFA FF015618
	v_mul_f32_dpp v87, v24, v87 row_newbcast:7 row_mask:0xf bank_mask:0xf// 000000006050: 0AAEAEFA FF015718
	v_mul_f32_dpp v88, v24, v88 row_newbcast:4 row_mask:0xf bank_mask:0xf// 000000006058: 0AB0B0FA FF015418
	v_mul_f32_dpp v89, v24, v89 row_newbcast:5 row_mask:0xf bank_mask:0xf// 000000006060: 0AB2B2FA FF015518
	v_mul_f32_dpp v90, v24, v90 row_newbcast:6 row_mask:0xf bank_mask:0xf// 000000006068: 0AB4B4FA FF015618
	v_mul_f32_dpp v91, v24, v91 row_newbcast:7 row_mask:0xf bank_mask:0xf// 000000006070: 0AB6B6FA FF015718
	v_mul_f32_dpp v92, v24, v92 row_newbcast:4 row_mask:0xf bank_mask:0xf// 000000006078: 0AB8B8FA FF015418
	v_mul_f32_dpp v93, v24, v93 row_newbcast:5 row_mask:0xf bank_mask:0xf// 000000006080: 0ABABAFA FF015518
	v_mul_f32_dpp v94, v24, v94 row_newbcast:6 row_mask:0xf bank_mask:0xf// 000000006088: 0ABCBCFA FF015618
	v_mul_f32_dpp v95, v24, v95 row_newbcast:7 row_mask:0xf bank_mask:0xf// 000000006090: 0ABEBEFA FF015718
	v_mul_f32_dpp v96, v24, v96 row_newbcast:4 row_mask:0xf bank_mask:0xf// 000000006098: 0AC0C0FA FF015418
	v_mul_f32_dpp v97, v24, v97 row_newbcast:5 row_mask:0xf bank_mask:0xf// 0000000060A0: 0AC2C2FA FF015518
	v_mul_f32_dpp v98, v24, v98 row_newbcast:6 row_mask:0xf bank_mask:0xf// 0000000060A8: 0AC4C4FA FF015618
	v_mul_f32_dpp v99, v24, v99 row_newbcast:7 row_mask:0xf bank_mask:0xf// 0000000060B0: 0AC6C6FA FF015718
	v_mul_f32_dpp v100, v24, v100 row_newbcast:4 row_mask:0xf bank_mask:0xf// 0000000060B8: 0AC8C8FA FF015418
	v_mul_f32_dpp v101, v24, v101 row_newbcast:5 row_mask:0xf bank_mask:0xf// 0000000060C0: 0ACACAFA FF015518
	v_mul_f32_dpp v102, v24, v102 row_newbcast:6 row_mask:0xf bank_mask:0xf// 0000000060C8: 0ACCCCFA FF015618
	v_mul_f32_dpp v103, v24, v103 row_newbcast:7 row_mask:0xf bank_mask:0xf// 0000000060D0: 0ACECEFA FF015718
	v_mul_f32_dpp v104, v24, v104 row_newbcast:8 row_mask:0xf bank_mask:0xf// 0000000060D8: 0AD0D0FA FF015818
	v_mul_f32_dpp v105, v24, v105 row_newbcast:9 row_mask:0xf bank_mask:0xf// 0000000060E0: 0AD2D2FA FF015918
	v_mul_f32_dpp v106, v24, v106 row_newbcast:10 row_mask:0xf bank_mask:0xf// 0000000060E8: 0AD4D4FA FF015A18
	v_mul_f32_dpp v107, v24, v107 row_newbcast:11 row_mask:0xf bank_mask:0xf// 0000000060F0: 0AD6D6FA FF015B18
	v_mul_f32_dpp v108, v24, v108 row_newbcast:8 row_mask:0xf bank_mask:0xf// 0000000060F8: 0AD8D8FA FF015818
	v_mul_f32_dpp v109, v24, v109 row_newbcast:9 row_mask:0xf bank_mask:0xf// 000000006100: 0ADADAFA FF015918
	v_mul_f32_dpp v110, v24, v110 row_newbcast:10 row_mask:0xf bank_mask:0xf// 000000006108: 0ADCDCFA FF015A18
	v_mul_f32_dpp v111, v24, v111 row_newbcast:11 row_mask:0xf bank_mask:0xf// 000000006110: 0ADEDEFA FF015B18
	v_mul_f32_dpp v112, v24, v112 row_newbcast:8 row_mask:0xf bank_mask:0xf// 000000006118: 0AE0E0FA FF015818
	v_mul_f32_dpp v113, v24, v113 row_newbcast:9 row_mask:0xf bank_mask:0xf// 000000006120: 0AE2E2FA FF015918
	v_mul_f32_dpp v114, v24, v114 row_newbcast:10 row_mask:0xf bank_mask:0xf// 000000006128: 0AE4E4FA FF015A18
	v_mul_f32_dpp v115, v24, v115 row_newbcast:11 row_mask:0xf bank_mask:0xf// 000000006130: 0AE6E6FA FF015B18
	v_mul_f32_dpp v116, v24, v116 row_newbcast:8 row_mask:0xf bank_mask:0xf// 000000006138: 0AE8E8FA FF015818
	v_mul_f32_dpp v117, v24, v117 row_newbcast:9 row_mask:0xf bank_mask:0xf// 000000006140: 0AEAEAFA FF015918
	v_mul_f32_dpp v118, v24, v118 row_newbcast:10 row_mask:0xf bank_mask:0xf// 000000006148: 0AECECFA FF015A18
	v_mul_f32_dpp v119, v24, v119 row_newbcast:11 row_mask:0xf bank_mask:0xf// 000000006150: 0AEEEEFA FF015B18
	v_mul_f32_dpp v120, v24, v120 row_newbcast:8 row_mask:0xf bank_mask:0xf// 000000006158: 0AF0F0FA FF015818
	v_mul_f32_dpp v121, v24, v121 row_newbcast:9 row_mask:0xf bank_mask:0xf// 000000006160: 0AF2F2FA FF015918
	v_mul_f32_dpp v122, v24, v122 row_newbcast:10 row_mask:0xf bank_mask:0xf// 000000006168: 0AF4F4FA FF015A18
	v_mul_f32_dpp v123, v24, v123 row_newbcast:11 row_mask:0xf bank_mask:0xf// 000000006170: 0AF6F6FA FF015B18
	v_mul_f32_dpp v124, v24, v124 row_newbcast:12 row_mask:0xf bank_mask:0xf// 000000006178: 0AF8F8FA FF015C18
	v_mul_f32_dpp v125, v24, v125 row_newbcast:13 row_mask:0xf bank_mask:0xf// 000000006180: 0AFAFAFA FF015D18
	v_mul_f32_dpp v126, v24, v126 row_newbcast:14 row_mask:0xf bank_mask:0xf// 000000006188: 0AFCFCFA FF015E18
	v_mul_f32_dpp v127, v24, v127 row_newbcast:15 row_mask:0xf bank_mask:0xf// 000000006190: 0AFEFEFA FF015F18
	v_mul_f32_dpp v128, v24, v128 row_newbcast:12 row_mask:0xf bank_mask:0xf// 000000006198: 0B0100FA FF015C18
	v_mul_f32_dpp v129, v24, v129 row_newbcast:13 row_mask:0xf bank_mask:0xf// 0000000061A0: 0B0302FA FF015D18
	v_mul_f32_dpp v130, v24, v130 row_newbcast:14 row_mask:0xf bank_mask:0xf// 0000000061A8: 0B0504FA FF015E18
	v_mul_f32_dpp v131, v24, v131 row_newbcast:15 row_mask:0xf bank_mask:0xf// 0000000061B0: 0B0706FA FF015F18
	v_mul_f32_dpp v132, v24, v132 row_newbcast:12 row_mask:0xf bank_mask:0xf// 0000000061B8: 0B0908FA FF015C18
	v_mul_f32_dpp v133, v24, v133 row_newbcast:13 row_mask:0xf bank_mask:0xf// 0000000061C0: 0B0B0AFA FF015D18
	v_mul_f32_dpp v134, v24, v134 row_newbcast:14 row_mask:0xf bank_mask:0xf// 0000000061C8: 0B0D0CFA FF015E18
	v_mul_f32_dpp v135, v24, v135 row_newbcast:15 row_mask:0xf bank_mask:0xf// 0000000061D0: 0B0F0EFA FF015F18
	v_mul_f32_dpp v136, v24, v136 row_newbcast:12 row_mask:0xf bank_mask:0xf// 0000000061D8: 0B1110FA FF015C18
	v_mul_f32_dpp v137, v24, v137 row_newbcast:13 row_mask:0xf bank_mask:0xf// 0000000061E0: 0B1312FA FF015D18
	v_mul_f32_dpp v138, v24, v138 row_newbcast:14 row_mask:0xf bank_mask:0xf// 0000000061E8: 0B1514FA FF015E18
	v_mul_f32_dpp v139, v24, v139 row_newbcast:15 row_mask:0xf bank_mask:0xf// 0000000061F0: 0B1716FA FF015F18
	v_mul_f32_dpp v140, v24, v140 row_newbcast:12 row_mask:0xf bank_mask:0xf// 0000000061F8: 0B1918FA FF015C18
	v_mul_f32_dpp v141, v24, v141 row_newbcast:13 row_mask:0xf bank_mask:0xf// 000000006200: 0B1B1AFA FF015D18
	v_mul_f32_dpp v142, v24, v142 row_newbcast:14 row_mask:0xf bank_mask:0xf// 000000006208: 0B1D1CFA FF015E18
	v_mul_f32_dpp v143, v24, v143 row_newbcast:15 row_mask:0xf bank_mask:0xf// 000000006210: 0B1F1EFA FF015F18
	v_mul_f32_dpp v144, v27, v144 row_newbcast:0 row_mask:0xf bank_mask:0xf// 000000006218: 0B2120FA FF01501B
	v_mul_f32_dpp v145, v27, v145 row_newbcast:1 row_mask:0xf bank_mask:0xf// 000000006220: 0B2322FA FF01511B
	v_mul_f32_dpp v146, v27, v146 row_newbcast:2 row_mask:0xf bank_mask:0xf// 000000006228: 0B2524FA FF01521B
	v_mul_f32_dpp v147, v27, v147 row_newbcast:3 row_mask:0xf bank_mask:0xf// 000000006230: 0B2726FA FF01531B
	v_mul_f32_dpp v148, v27, v148 row_newbcast:0 row_mask:0xf bank_mask:0xf// 000000006238: 0B2928FA FF01501B
	v_mul_f32_dpp v149, v27, v149 row_newbcast:1 row_mask:0xf bank_mask:0xf// 000000006240: 0B2B2AFA FF01511B
	v_mul_f32_dpp v150, v27, v150 row_newbcast:2 row_mask:0xf bank_mask:0xf// 000000006248: 0B2D2CFA FF01521B
	v_mul_f32_dpp v151, v27, v151 row_newbcast:3 row_mask:0xf bank_mask:0xf// 000000006250: 0B2F2EFA FF01531B
	v_mul_f32_dpp v152, v27, v152 row_newbcast:0 row_mask:0xf bank_mask:0xf// 000000006258: 0B3130FA FF01501B
	v_mul_f32_dpp v153, v27, v153 row_newbcast:1 row_mask:0xf bank_mask:0xf// 000000006260: 0B3332FA FF01511B
	v_mul_f32_dpp v154, v27, v154 row_newbcast:2 row_mask:0xf bank_mask:0xf// 000000006268: 0B3534FA FF01521B
	v_mul_f32_dpp v155, v27, v155 row_newbcast:3 row_mask:0xf bank_mask:0xf// 000000006270: 0B3736FA FF01531B
	v_mul_f32_dpp v156, v27, v156 row_newbcast:0 row_mask:0xf bank_mask:0xf// 000000006278: 0B3938FA FF01501B
	v_mul_f32_dpp v157, v27, v157 row_newbcast:1 row_mask:0xf bank_mask:0xf// 000000006280: 0B3B3AFA FF01511B
	v_mul_f32_dpp v158, v27, v158 row_newbcast:2 row_mask:0xf bank_mask:0xf// 000000006288: 0B3D3CFA FF01521B
	v_mul_f32_dpp v159, v27, v159 row_newbcast:3 row_mask:0xf bank_mask:0xf// 000000006290: 0B3F3EFA FF01531B
	v_mul_f32_dpp v160, v27, v160 row_newbcast:0 row_mask:0xf bank_mask:0xf// 000000006298: 0B4140FA FF01501B
	v_mul_f32_dpp v161, v27, v161 row_newbcast:1 row_mask:0xf bank_mask:0xf// 0000000062A0: 0B4342FA FF01511B
	v_mul_f32_dpp v162, v27, v162 row_newbcast:2 row_mask:0xf bank_mask:0xf// 0000000062A8: 0B4544FA FF01521B
	v_mul_f32_dpp v163, v27, v163 row_newbcast:3 row_mask:0xf bank_mask:0xf// 0000000062B0: 0B4746FA FF01531B
	v_mul_f32_dpp v164, v27, v164 row_newbcast:4 row_mask:0xf bank_mask:0xf// 0000000062B8: 0B4948FA FF01541B
	v_mul_f32_dpp v165, v27, v165 row_newbcast:5 row_mask:0xf bank_mask:0xf// 0000000062C0: 0B4B4AFA FF01551B
	v_mul_f32_dpp v166, v27, v166 row_newbcast:6 row_mask:0xf bank_mask:0xf// 0000000062C8: 0B4D4CFA FF01561B
	v_mul_f32_dpp v167, v27, v167 row_newbcast:7 row_mask:0xf bank_mask:0xf// 0000000062D0: 0B4F4EFA FF01571B
	v_mul_f32_dpp v168, v27, v168 row_newbcast:4 row_mask:0xf bank_mask:0xf// 0000000062D8: 0B5150FA FF01541B
	v_mul_f32_dpp v169, v27, v169 row_newbcast:5 row_mask:0xf bank_mask:0xf// 0000000062E0: 0B5352FA FF01551B
	v_mul_f32_dpp v170, v27, v170 row_newbcast:6 row_mask:0xf bank_mask:0xf// 0000000062E8: 0B5554FA FF01561B
	v_mul_f32_dpp v171, v27, v171 row_newbcast:7 row_mask:0xf bank_mask:0xf// 0000000062F0: 0B5756FA FF01571B
	v_mul_f32_dpp v172, v27, v172 row_newbcast:4 row_mask:0xf bank_mask:0xf// 0000000062F8: 0B5958FA FF01541B
	v_mul_f32_dpp v173, v27, v173 row_newbcast:5 row_mask:0xf bank_mask:0xf// 000000006300: 0B5B5AFA FF01551B
	v_mul_f32_dpp v174, v27, v174 row_newbcast:6 row_mask:0xf bank_mask:0xf// 000000006308: 0B5D5CFA FF01561B
	v_mul_f32_dpp v175, v27, v175 row_newbcast:7 row_mask:0xf bank_mask:0xf// 000000006310: 0B5F5EFA FF01571B
	v_mul_f32_dpp v176, v27, v176 row_newbcast:4 row_mask:0xf bank_mask:0xf// 000000006318: 0B6160FA FF01541B
	v_mul_f32_dpp v177, v27, v177 row_newbcast:5 row_mask:0xf bank_mask:0xf// 000000006320: 0B6362FA FF01551B
	v_mul_f32_dpp v178, v27, v178 row_newbcast:6 row_mask:0xf bank_mask:0xf// 000000006328: 0B6564FA FF01561B
	v_mul_f32_dpp v179, v27, v179 row_newbcast:7 row_mask:0xf bank_mask:0xf// 000000006330: 0B6766FA FF01571B
	v_mul_f32_dpp v180, v27, v180 row_newbcast:4 row_mask:0xf bank_mask:0xf// 000000006338: 0B6968FA FF01541B
	v_mul_f32_dpp v181, v27, v181 row_newbcast:5 row_mask:0xf bank_mask:0xf// 000000006340: 0B6B6AFA FF01551B
	v_mul_f32_dpp v182, v27, v182 row_newbcast:6 row_mask:0xf bank_mask:0xf// 000000006348: 0B6D6CFA FF01561B
	v_mul_f32_dpp v183, v27, v183 row_newbcast:7 row_mask:0xf bank_mask:0xf// 000000006350: 0B6F6EFA FF01571B
	v_mul_f32_dpp v184, v27, v184 row_newbcast:8 row_mask:0xf bank_mask:0xf// 000000006358: 0B7170FA FF01581B
	v_mul_f32_dpp v185, v27, v185 row_newbcast:9 row_mask:0xf bank_mask:0xf// 000000006360: 0B7372FA FF01591B
	v_mul_f32_dpp v186, v27, v186 row_newbcast:10 row_mask:0xf bank_mask:0xf// 000000006368: 0B7574FA FF015A1B
	v_mul_f32_dpp v187, v27, v187 row_newbcast:11 row_mask:0xf bank_mask:0xf// 000000006370: 0B7776FA FF015B1B
	v_mul_f32_dpp v188, v27, v188 row_newbcast:8 row_mask:0xf bank_mask:0xf// 000000006378: 0B7978FA FF01581B
	v_mul_f32_dpp v189, v27, v189 row_newbcast:9 row_mask:0xf bank_mask:0xf// 000000006380: 0B7B7AFA FF01591B
	v_mul_f32_dpp v190, v27, v190 row_newbcast:10 row_mask:0xf bank_mask:0xf// 000000006388: 0B7D7CFA FF015A1B
	v_mul_f32_dpp v191, v27, v191 row_newbcast:11 row_mask:0xf bank_mask:0xf// 000000006390: 0B7F7EFA FF015B1B
	v_mul_f32_dpp v192, v27, v192 row_newbcast:8 row_mask:0xf bank_mask:0xf// 000000006398: 0B8180FA FF01581B
	v_mul_f32_dpp v193, v27, v193 row_newbcast:9 row_mask:0xf bank_mask:0xf// 0000000063A0: 0B8382FA FF01591B
	v_mul_f32_dpp v194, v27, v194 row_newbcast:10 row_mask:0xf bank_mask:0xf// 0000000063A8: 0B8584FA FF015A1B
	v_mul_f32_dpp v195, v27, v195 row_newbcast:11 row_mask:0xf bank_mask:0xf// 0000000063B0: 0B8786FA FF015B1B
	v_mul_f32_dpp v196, v27, v196 row_newbcast:8 row_mask:0xf bank_mask:0xf// 0000000063B8: 0B8988FA FF01581B
	v_mul_f32_dpp v197, v27, v197 row_newbcast:9 row_mask:0xf bank_mask:0xf// 0000000063C0: 0B8B8AFA FF01591B
	v_mul_f32_dpp v198, v27, v198 row_newbcast:10 row_mask:0xf bank_mask:0xf// 0000000063C8: 0B8D8CFA FF015A1B
	v_mul_f32_dpp v199, v27, v199 row_newbcast:11 row_mask:0xf bank_mask:0xf// 0000000063D0: 0B8F8EFA FF015B1B
	v_mul_f32_dpp v200, v27, v200 row_newbcast:8 row_mask:0xf bank_mask:0xf// 0000000063D8: 0B9190FA FF01581B
	v_mul_f32_dpp v201, v27, v201 row_newbcast:9 row_mask:0xf bank_mask:0xf// 0000000063E0: 0B9392FA FF01591B
	v_mul_f32_dpp v202, v27, v202 row_newbcast:10 row_mask:0xf bank_mask:0xf// 0000000063E8: 0B9594FA FF015A1B
	v_mul_f32_dpp v203, v27, v203 row_newbcast:11 row_mask:0xf bank_mask:0xf// 0000000063F0: 0B9796FA FF015B1B
	v_mul_f32_dpp v204, v27, v204 row_newbcast:12 row_mask:0xf bank_mask:0xf// 0000000063F8: 0B9998FA FF015C1B
	v_mul_f32_dpp v205, v27, v205 row_newbcast:13 row_mask:0xf bank_mask:0xf// 000000006400: 0B9B9AFA FF015D1B
	v_mul_f32_dpp v206, v27, v206 row_newbcast:14 row_mask:0xf bank_mask:0xf// 000000006408: 0B9D9CFA FF015E1B
	v_mul_f32_dpp v207, v27, v207 row_newbcast:15 row_mask:0xf bank_mask:0xf// 000000006410: 0B9F9EFA FF015F1B
	v_mul_f32_dpp v208, v27, v208 row_newbcast:12 row_mask:0xf bank_mask:0xf// 000000006418: 0BA1A0FA FF015C1B
	v_mul_f32_dpp v209, v27, v209 row_newbcast:13 row_mask:0xf bank_mask:0xf// 000000006420: 0BA3A2FA FF015D1B
	v_mul_f32_dpp v210, v27, v210 row_newbcast:14 row_mask:0xf bank_mask:0xf// 000000006428: 0BA5A4FA FF015E1B
	v_mul_f32_dpp v211, v27, v211 row_newbcast:15 row_mask:0xf bank_mask:0xf// 000000006430: 0BA7A6FA FF015F1B
	v_mul_f32_dpp v212, v27, v212 row_newbcast:12 row_mask:0xf bank_mask:0xf// 000000006438: 0BA9A8FA FF015C1B
	v_mul_f32_dpp v213, v27, v213 row_newbcast:13 row_mask:0xf bank_mask:0xf// 000000006440: 0BABAAFA FF015D1B
	v_mul_f32_dpp v214, v27, v214 row_newbcast:14 row_mask:0xf bank_mask:0xf// 000000006448: 0BADACFA FF015E1B
	v_mul_f32_dpp v215, v27, v215 row_newbcast:15 row_mask:0xf bank_mask:0xf// 000000006450: 0BAFAEFA FF015F1B
	v_mul_f32_dpp v216, v27, v216 row_newbcast:12 row_mask:0xf bank_mask:0xf// 000000006458: 0BB1B0FA FF015C1B
	v_mul_f32_dpp v217, v27, v217 row_newbcast:13 row_mask:0xf bank_mask:0xf// 000000006460: 0BB3B2FA FF015D1B
	v_mul_f32_dpp v218, v27, v218 row_newbcast:14 row_mask:0xf bank_mask:0xf// 000000006468: 0BB5B4FA FF015E1B
	v_mul_f32_dpp v219, v27, v219 row_newbcast:15 row_mask:0xf bank_mask:0xf// 000000006470: 0BB7B6FA FF015F1B
	v_mul_f32_dpp v220, v27, v220 row_newbcast:12 row_mask:0xf bank_mask:0xf// 000000006478: 0BB9B8FA FF015C1B
	v_mul_f32_dpp v221, v27, v221 row_newbcast:13 row_mask:0xf bank_mask:0xf// 000000006480: 0BBBBAFA FF015D1B
	v_mul_f32_dpp v222, v27, v222 row_newbcast:14 row_mask:0xf bank_mask:0xf// 000000006488: 0BBDBCFA FF015E1B
	v_mul_f32_dpp v223, v27, v223 row_newbcast:15 row_mask:0xf bank_mask:0xf// 000000006490: 0BBFBEFA FF015F1B
	v_mul_f32_e32 v35, v35, v224                               // 000000006498: 0A47C123
	v_mov_b32_e32 v4, v35                                      // 00000000649C: 7E080323
	v_mov_b32_e32 v5, v4                                       // 0000000064A0: 7E0A0304
	v_pk_mul_f32 v[64:65], v[4:5], v[64:65]                    // 0000000064A4: D3B14040 18028104
	v_pk_mul_f32 v[144:145], v[4:5], v[144:145]                // 0000000064AC: D3B14090 18032104
	v_pk_mul_f32 v[66:67], v[4:5], v[66:67]                    // 0000000064B4: D3B14042 18028504
	v_pk_mul_f32 v[146:147], v[4:5], v[146:147]                // 0000000064BC: D3B14092 18032504
	v_pk_mul_f32 v[84:85], v[4:5], v[84:85]                    // 0000000064C4: D3B14054 1802A904
	v_pk_mul_f32 v[164:165], v[4:5], v[164:165]                // 0000000064CC: D3B140A4 18034904
	v_pk_mul_f32 v[86:87], v[4:5], v[86:87]                    // 0000000064D4: D3B14056 1802AD04
	v_pk_mul_f32 v[166:167], v[4:5], v[166:167]                // 0000000064DC: D3B140A6 18034D04
	v_pk_mul_f32 v[104:105], v[4:5], v[104:105]                // 0000000064E4: D3B14068 1802D104
	v_pk_mul_f32 v[184:185], v[4:5], v[184:185]                // 0000000064EC: D3B140B8 18037104
	v_pk_mul_f32 v[106:107], v[4:5], v[106:107]                // 0000000064F4: D3B1406A 1802D504
	v_pk_mul_f32 v[186:187], v[4:5], v[186:187]                // 0000000064FC: D3B140BA 18037504
	v_pk_mul_f32 v[124:125], v[4:5], v[124:125]                // 000000006504: D3B1407C 1802F904
	v_pk_mul_f32 v[204:205], v[4:5], v[204:205]                // 00000000650C: D3B140CC 18039904
	v_pk_mul_f32 v[126:127], v[4:5], v[126:127]                // 000000006514: D3B1407E 1802FD04
	v_pk_mul_f32 v[206:207], v[4:5], v[206:207]                // 00000000651C: D3B140CE 18039D04
	v_mul_f32_e32 v36, v36, v225                               // 000000006524: 0A49C324
	v_mov_b32_e32 v4, v36                                      // 000000006528: 7E080324
	v_mov_b32_e32 v5, v4                                       // 00000000652C: 7E0A0304
	v_pk_mul_f32 v[68:69], v[4:5], v[68:69]                    // 000000006530: D3B14044 18028904
	v_pk_mul_f32 v[148:149], v[4:5], v[148:149]                // 000000006538: D3B14094 18032904
	v_pk_mul_f32 v[70:71], v[4:5], v[70:71]                    // 000000006540: D3B14046 18028D04
	v_pk_mul_f32 v[150:151], v[4:5], v[150:151]                // 000000006548: D3B14096 18032D04
	v_pk_mul_f32 v[88:89], v[4:5], v[88:89]                    // 000000006550: D3B14058 1802B104
	v_pk_mul_f32 v[168:169], v[4:5], v[168:169]                // 000000006558: D3B140A8 18035104
	v_pk_mul_f32 v[90:91], v[4:5], v[90:91]                    // 000000006560: D3B1405A 1802B504
	v_pk_mul_f32 v[170:171], v[4:5], v[170:171]                // 000000006568: D3B140AA 18035504
	v_pk_mul_f32 v[108:109], v[4:5], v[108:109]                // 000000006570: D3B1406C 1802D904
	v_pk_mul_f32 v[188:189], v[4:5], v[188:189]                // 000000006578: D3B140BC 18037904
	v_pk_mul_f32 v[110:111], v[4:5], v[110:111]                // 000000006580: D3B1406E 1802DD04
	v_pk_mul_f32 v[190:191], v[4:5], v[190:191]                // 000000006588: D3B140BE 18037D04
	v_pk_mul_f32 v[128:129], v[4:5], v[128:129]                // 000000006590: D3B14080 18030104
	v_pk_mul_f32 v[208:209], v[4:5], v[208:209]                // 000000006598: D3B140D0 1803A104
	v_pk_mul_f32 v[130:131], v[4:5], v[130:131]                // 0000000065A0: D3B14082 18030504
	v_pk_mul_f32 v[210:211], v[4:5], v[210:211]                // 0000000065A8: D3B140D2 1803A504
	v_mul_f32_e32 v37, v37, v226                               // 0000000065B0: 0A4BC525
	v_mov_b32_e32 v4, v37                                      // 0000000065B4: 7E080325
	v_mov_b32_e32 v5, v4                                       // 0000000065B8: 7E0A0304
	v_pk_mul_f32 v[72:73], v[4:5], v[72:73]                    // 0000000065BC: D3B14048 18029104
	v_pk_mul_f32 v[152:153], v[4:5], v[152:153]                // 0000000065C4: D3B14098 18033104
	v_pk_mul_f32 v[74:75], v[4:5], v[74:75]                    // 0000000065CC: D3B1404A 18029504
	v_pk_mul_f32 v[154:155], v[4:5], v[154:155]                // 0000000065D4: D3B1409A 18033504
	v_pk_mul_f32 v[92:93], v[4:5], v[92:93]                    // 0000000065DC: D3B1405C 1802B904
	v_pk_mul_f32 v[172:173], v[4:5], v[172:173]                // 0000000065E4: D3B140AC 18035904
	v_pk_mul_f32 v[94:95], v[4:5], v[94:95]                    // 0000000065EC: D3B1405E 1802BD04
	v_pk_mul_f32 v[174:175], v[4:5], v[174:175]                // 0000000065F4: D3B140AE 18035D04
	v_pk_mul_f32 v[112:113], v[4:5], v[112:113]                // 0000000065FC: D3B14070 1802E104
	v_pk_mul_f32 v[192:193], v[4:5], v[192:193]                // 000000006604: D3B140C0 18038104
	v_pk_mul_f32 v[114:115], v[4:5], v[114:115]                // 00000000660C: D3B14072 1802E504
	v_pk_mul_f32 v[194:195], v[4:5], v[194:195]                // 000000006614: D3B140C2 18038504
	v_pk_mul_f32 v[132:133], v[4:5], v[132:133]                // 00000000661C: D3B14084 18030904
	v_pk_mul_f32 v[212:213], v[4:5], v[212:213]                // 000000006624: D3B140D4 1803A904
	v_pk_mul_f32 v[134:135], v[4:5], v[134:135]                // 00000000662C: D3B14086 18030D04
	v_pk_mul_f32 v[214:215], v[4:5], v[214:215]                // 000000006634: D3B140D6 1803AD04
	v_mul_f32_e32 v38, v38, v227                               // 00000000663C: 0A4DC726
	v_mov_b32_e32 v4, v38                                      // 000000006640: 7E080326
	v_mov_b32_e32 v5, v4                                       // 000000006644: 7E0A0304
	v_pk_mul_f32 v[76:77], v[4:5], v[76:77]                    // 000000006648: D3B1404C 18029904
	v_pk_mul_f32 v[156:157], v[4:5], v[156:157]                // 000000006650: D3B1409C 18033904
	v_pk_mul_f32 v[78:79], v[4:5], v[78:79]                    // 000000006658: D3B1404E 18029D04
	v_pk_mul_f32 v[158:159], v[4:5], v[158:159]                // 000000006660: D3B1409E 18033D04
	v_pk_mul_f32 v[96:97], v[4:5], v[96:97]                    // 000000006668: D3B14060 1802C104
	v_pk_mul_f32 v[176:177], v[4:5], v[176:177]                // 000000006670: D3B140B0 18036104
	v_pk_mul_f32 v[98:99], v[4:5], v[98:99]                    // 000000006678: D3B14062 1802C504
	v_pk_mul_f32 v[178:179], v[4:5], v[178:179]                // 000000006680: D3B140B2 18036504
	v_pk_mul_f32 v[116:117], v[4:5], v[116:117]                // 000000006688: D3B14074 1802E904
	v_pk_mul_f32 v[196:197], v[4:5], v[196:197]                // 000000006690: D3B140C4 18038904
	v_pk_mul_f32 v[118:119], v[4:5], v[118:119]                // 000000006698: D3B14076 1802ED04
	v_pk_mul_f32 v[198:199], v[4:5], v[198:199]                // 0000000066A0: D3B140C6 18038D04
	v_pk_mul_f32 v[136:137], v[4:5], v[136:137]                // 0000000066A8: D3B14088 18031104
	v_pk_mul_f32 v[216:217], v[4:5], v[216:217]                // 0000000066B0: D3B140D8 1803B104
	v_pk_mul_f32 v[138:139], v[4:5], v[138:139]                // 0000000066B8: D3B1408A 18031504
	v_pk_mul_f32 v[218:219], v[4:5], v[218:219]                // 0000000066C0: D3B140DA 1803B504
	v_mul_f32_e32 v39, v39, v228                               // 0000000066C8: 0A4FC927
	v_mov_b32_e32 v4, v39                                      // 0000000066CC: 7E080327
	v_mov_b32_e32 v5, v4                                       // 0000000066D0: 7E0A0304
	v_pk_mul_f32 v[80:81], v[4:5], v[80:81]                    // 0000000066D4: D3B14050 1802A104
	v_pk_mul_f32 v[160:161], v[4:5], v[160:161]                // 0000000066DC: D3B140A0 18034104
	v_pk_mul_f32 v[82:83], v[4:5], v[82:83]                    // 0000000066E4: D3B14052 1802A504
	v_pk_mul_f32 v[162:163], v[4:5], v[162:163]                // 0000000066EC: D3B140A2 18034504
	v_pk_mul_f32 v[100:101], v[4:5], v[100:101]                // 0000000066F4: D3B14064 1802C904
	v_pk_mul_f32 v[180:181], v[4:5], v[180:181]                // 0000000066FC: D3B140B4 18036904
	v_pk_mul_f32 v[102:103], v[4:5], v[102:103]                // 000000006704: D3B14066 1802CD04
	v_pk_mul_f32 v[182:183], v[4:5], v[182:183]                // 00000000670C: D3B140B6 18036D04
	v_pk_mul_f32 v[120:121], v[4:5], v[120:121]                // 000000006714: D3B14078 1802F104
	v_pk_mul_f32 v[200:201], v[4:5], v[200:201]                // 00000000671C: D3B140C8 18039104
	v_pk_mul_f32 v[122:123], v[4:5], v[122:123]                // 000000006724: D3B1407A 1802F504
	v_pk_mul_f32 v[202:203], v[4:5], v[202:203]                // 00000000672C: D3B140CA 18039504
	v_pk_mul_f32 v[140:141], v[4:5], v[140:141]                // 000000006734: D3B1408C 18031904
	v_pk_mul_f32 v[220:221], v[4:5], v[220:221]                // 00000000673C: D3B140DC 1803B904
	v_pk_mul_f32 v[142:143], v[4:5], v[142:143]                // 000000006744: D3B1408E 18031D04
	v_pk_mul_f32 v[222:223], v[4:5], v[222:223]                // 00000000674C: D3B140DE 1803BD04
	s_cmp_eq_u32 s88, 0                                        // 000000006754: BF068058
	s_cbranch_scc0 label_198C                                  // 000000006758: BF840A35
	s_cmp_eq_u32 s89, 0                                        // 00000000675C: BF068059
	s_cbranch_scc1 label_127E                                  // 000000006760: BF850325
	v_mov_b32_e32 v8, v1                                       // 000000006764: 7E100301
	v_mov_b32_e32 v9, v1                                       // 000000006768: 7E120301
	s_mov_b32 s60, s6                                          // 00000000676C: BEBC0006
	s_mov_b32 s61, s6                                          // 000000006770: BEBD0006
	v_pk_mul_f32 v[4:5], v[64:65], v[64:65]                    // 000000006774: D3B14004 18028140
	v_pk_mul_f32 v[6:7], v[66:67], v[66:67]                    // 00000000677C: D3B14006 18028542
	v_pk_fma_f32 v[4:5], v[4:5], s[78:79], v[8:9]              // 000000006784: D3B04004 1C209D04
	v_pk_fma_f32 v[6:7], v[6:7], s[78:79], v[8:9]              // 00000000678C: D3B04006 1C209D06
	v_pk_mul_f32 v[4:5], v[4:5], v[64:65]                      // 000000006794: D3B14004 18028104
	v_pk_mul_f32 v[6:7], v[6:7], v[66:67]                      // 00000000679C: D3B14006 18028506
	v_pk_mul_f32 v[4:5], v[4:5], s[60:61]                      // 0000000067A4: D3B14004 18007904
	v_pk_mul_f32 v[6:7], v[6:7], s[60:61]                      // 0000000067AC: D3B14006 18007906
	v_exp_f32_e32 v4, v4                                       // 0000000067B4: 7E084104
	v_exp_f32_e32 v5, v5                                       // 0000000067B8: 7E0A4105
	v_exp_f32_e32 v6, v6                                       // 0000000067BC: 7E0C4106
	v_exp_f32_e32 v7, v7                                       // 0000000067C0: 7E0E4107
	v_add_f32_e64 v4, v4, 1.0                                  // 0000000067C4: D1010004 0001E504
	v_add_f32_e64 v5, v5, 1.0                                  // 0000000067CC: D1010005 0001E505
	v_add_f32_e64 v6, v6, 1.0                                  // 0000000067D4: D1010006 0001E506
	v_add_f32_e64 v7, v7, 1.0                                  // 0000000067DC: D1010007 0001E507
	v_rcp_f32_e32 v4, v4                                       // 0000000067E4: 7E084504
	v_rcp_f32_e32 v5, v5                                       // 0000000067E8: 7E0A4505
	v_rcp_f32_e32 v6, v6                                       // 0000000067EC: 7E0C4506
	v_rcp_f32_e32 v7, v7                                       // 0000000067F0: 7E0E4507
	v_mul_f32_e32 v64, v64, v4                                 // 0000000067F4: 0A800940
	v_mul_f32_e32 v65, v65, v5                                 // 0000000067F8: 0A820B41
	v_mul_f32_e32 v66, v66, v6                                 // 0000000067FC: 0A840D42
	v_mul_f32_e32 v67, v67, v7                                 // 000000006800: 0A860F43
	v_mul_f32_e32 v64, v64, v144                               // 000000006804: 0A812140
	v_mul_f32_e32 v65, v65, v145                               // 000000006808: 0A832341
	v_mul_f32_e32 v66, v66, v146                               // 00000000680C: 0A852542
	v_mul_f32_e32 v67, v67, v147                               // 000000006810: 0A872743
	v_pk_mul_f32 v[4:5], v[68:69], v[68:69]                    // 000000006814: D3B14004 18028944
	v_pk_mul_f32 v[6:7], v[70:71], v[70:71]                    // 00000000681C: D3B14006 18028D46
	v_pk_fma_f32 v[4:5], v[4:5], s[78:79], v[8:9]              // 000000006824: D3B04004 1C209D04
	v_pk_fma_f32 v[6:7], v[6:7], s[78:79], v[8:9]              // 00000000682C: D3B04006 1C209D06
	v_pk_mul_f32 v[4:5], v[4:5], v[68:69]                      // 000000006834: D3B14004 18028904
	v_pk_mul_f32 v[6:7], v[6:7], v[70:71]                      // 00000000683C: D3B14006 18028D06
	v_pk_mul_f32 v[4:5], v[4:5], s[60:61]                      // 000000006844: D3B14004 18007904
	v_pk_mul_f32 v[6:7], v[6:7], s[60:61]                      // 00000000684C: D3B14006 18007906
	v_exp_f32_e32 v4, v4                                       // 000000006854: 7E084104
	v_exp_f32_e32 v5, v5                                       // 000000006858: 7E0A4105
	v_exp_f32_e32 v6, v6                                       // 00000000685C: 7E0C4106
	v_exp_f32_e32 v7, v7                                       // 000000006860: 7E0E4107
	v_add_f32_e64 v4, v4, 1.0                                  // 000000006864: D1010004 0001E504
	v_add_f32_e64 v5, v5, 1.0                                  // 00000000686C: D1010005 0001E505
	v_add_f32_e64 v6, v6, 1.0                                  // 000000006874: D1010006 0001E506
	v_add_f32_e64 v7, v7, 1.0                                  // 00000000687C: D1010007 0001E507
	v_rcp_f32_e32 v4, v4                                       // 000000006884: 7E084504
	v_rcp_f32_e32 v5, v5                                       // 000000006888: 7E0A4505
	v_rcp_f32_e32 v6, v6                                       // 00000000688C: 7E0C4506
	v_rcp_f32_e32 v7, v7                                       // 000000006890: 7E0E4507
	v_mul_f32_e32 v68, v68, v4                                 // 000000006894: 0A880944
	v_mul_f32_e32 v69, v69, v5                                 // 000000006898: 0A8A0B45
	v_mul_f32_e32 v70, v70, v6                                 // 00000000689C: 0A8C0D46
	v_mul_f32_e32 v71, v71, v7                                 // 0000000068A0: 0A8E0F47
	v_mul_f32_e32 v68, v68, v148                               // 0000000068A4: 0A892944
	v_mul_f32_e32 v69, v69, v149                               // 0000000068A8: 0A8B2B45
	v_mul_f32_e32 v70, v70, v150                               // 0000000068AC: 0A8D2D46
	v_mul_f32_e32 v71, v71, v151                               // 0000000068B0: 0A8F2F47
	v_pk_mul_f32 v[4:5], v[72:73], v[72:73]                    // 0000000068B4: D3B14004 18029148
	v_pk_mul_f32 v[6:7], v[74:75], v[74:75]                    // 0000000068BC: D3B14006 1802954A
	v_pk_fma_f32 v[4:5], v[4:5], s[78:79], v[8:9]              // 0000000068C4: D3B04004 1C209D04
	v_pk_fma_f32 v[6:7], v[6:7], s[78:79], v[8:9]              // 0000000068CC: D3B04006 1C209D06
	v_pk_mul_f32 v[4:5], v[4:5], v[72:73]                      // 0000000068D4: D3B14004 18029104
	v_pk_mul_f32 v[6:7], v[6:7], v[74:75]                      // 0000000068DC: D3B14006 18029506
	v_pk_mul_f32 v[4:5], v[4:5], s[60:61]                      // 0000000068E4: D3B14004 18007904
	v_pk_mul_f32 v[6:7], v[6:7], s[60:61]                      // 0000000068EC: D3B14006 18007906
	v_exp_f32_e32 v4, v4                                       // 0000000068F4: 7E084104
	v_exp_f32_e32 v5, v5                                       // 0000000068F8: 7E0A4105
	v_exp_f32_e32 v6, v6                                       // 0000000068FC: 7E0C4106
	v_exp_f32_e32 v7, v7                                       // 000000006900: 7E0E4107
	v_add_f32_e64 v4, v4, 1.0                                  // 000000006904: D1010004 0001E504
	v_add_f32_e64 v5, v5, 1.0                                  // 00000000690C: D1010005 0001E505
	v_add_f32_e64 v6, v6, 1.0                                  // 000000006914: D1010006 0001E506
	v_add_f32_e64 v7, v7, 1.0                                  // 00000000691C: D1010007 0001E507
	v_rcp_f32_e32 v4, v4                                       // 000000006924: 7E084504
	v_rcp_f32_e32 v5, v5                                       // 000000006928: 7E0A4505
	v_rcp_f32_e32 v6, v6                                       // 00000000692C: 7E0C4506
	v_rcp_f32_e32 v7, v7                                       // 000000006930: 7E0E4507
	v_mul_f32_e32 v72, v72, v4                                 // 000000006934: 0A900948
	v_mul_f32_e32 v73, v73, v5                                 // 000000006938: 0A920B49
	v_mul_f32_e32 v74, v74, v6                                 // 00000000693C: 0A940D4A
	v_mul_f32_e32 v75, v75, v7                                 // 000000006940: 0A960F4B
	v_mul_f32_e32 v72, v72, v152                               // 000000006944: 0A913148
	v_mul_f32_e32 v73, v73, v153                               // 000000006948: 0A933349
	v_mul_f32_e32 v74, v74, v154                               // 00000000694C: 0A95354A
	v_mul_f32_e32 v75, v75, v155                               // 000000006950: 0A97374B
	v_pk_mul_f32 v[4:5], v[76:77], v[76:77]                    // 000000006954: D3B14004 1802994C
	v_pk_mul_f32 v[6:7], v[78:79], v[78:79]                    // 00000000695C: D3B14006 18029D4E
	v_pk_fma_f32 v[4:5], v[4:5], s[78:79], v[8:9]              // 000000006964: D3B04004 1C209D04
	v_pk_fma_f32 v[6:7], v[6:7], s[78:79], v[8:9]              // 00000000696C: D3B04006 1C209D06
	v_pk_mul_f32 v[4:5], v[4:5], v[76:77]                      // 000000006974: D3B14004 18029904
	v_pk_mul_f32 v[6:7], v[6:7], v[78:79]                      // 00000000697C: D3B14006 18029D06
	v_pk_mul_f32 v[4:5], v[4:5], s[60:61]                      // 000000006984: D3B14004 18007904
	v_pk_mul_f32 v[6:7], v[6:7], s[60:61]                      // 00000000698C: D3B14006 18007906
	v_exp_f32_e32 v4, v4                                       // 000000006994: 7E084104
	v_exp_f32_e32 v5, v5                                       // 000000006998: 7E0A4105
	v_exp_f32_e32 v6, v6                                       // 00000000699C: 7E0C4106
	v_exp_f32_e32 v7, v7                                       // 0000000069A0: 7E0E4107
	v_add_f32_e64 v4, v4, 1.0                                  // 0000000069A4: D1010004 0001E504
	v_add_f32_e64 v5, v5, 1.0                                  // 0000000069AC: D1010005 0001E505
	v_add_f32_e64 v6, v6, 1.0                                  // 0000000069B4: D1010006 0001E506
	v_add_f32_e64 v7, v7, 1.0                                  // 0000000069BC: D1010007 0001E507
	v_rcp_f32_e32 v4, v4                                       // 0000000069C4: 7E084504
	v_rcp_f32_e32 v5, v5                                       // 0000000069C8: 7E0A4505
	v_rcp_f32_e32 v6, v6                                       // 0000000069CC: 7E0C4506
	v_rcp_f32_e32 v7, v7                                       // 0000000069D0: 7E0E4507
	v_mul_f32_e32 v76, v76, v4                                 // 0000000069D4: 0A98094C
	v_mul_f32_e32 v77, v77, v5                                 // 0000000069D8: 0A9A0B4D
	v_mul_f32_e32 v78, v78, v6                                 // 0000000069DC: 0A9C0D4E
	v_mul_f32_e32 v79, v79, v7                                 // 0000000069E0: 0A9E0F4F
	v_mul_f32_e32 v76, v76, v156                               // 0000000069E4: 0A99394C
	v_mul_f32_e32 v77, v77, v157                               // 0000000069E8: 0A9B3B4D
	v_mul_f32_e32 v78, v78, v158                               // 0000000069EC: 0A9D3D4E
	v_mul_f32_e32 v79, v79, v159                               // 0000000069F0: 0A9F3F4F
	v_pk_mul_f32 v[4:5], v[80:81], v[80:81]                    // 0000000069F4: D3B14004 1802A150
	v_pk_mul_f32 v[6:7], v[82:83], v[82:83]                    // 0000000069FC: D3B14006 1802A552
	v_pk_fma_f32 v[4:5], v[4:5], s[78:79], v[8:9]              // 000000006A04: D3B04004 1C209D04
	v_pk_fma_f32 v[6:7], v[6:7], s[78:79], v[8:9]              // 000000006A0C: D3B04006 1C209D06
	v_pk_mul_f32 v[4:5], v[4:5], v[80:81]                      // 000000006A14: D3B14004 1802A104
	v_pk_mul_f32 v[6:7], v[6:7], v[82:83]                      // 000000006A1C: D3B14006 1802A506
	v_pk_mul_f32 v[4:5], v[4:5], s[60:61]                      // 000000006A24: D3B14004 18007904
	v_pk_mul_f32 v[6:7], v[6:7], s[60:61]                      // 000000006A2C: D3B14006 18007906
	v_exp_f32_e32 v4, v4                                       // 000000006A34: 7E084104
	v_exp_f32_e32 v5, v5                                       // 000000006A38: 7E0A4105
	v_exp_f32_e32 v6, v6                                       // 000000006A3C: 7E0C4106
	v_exp_f32_e32 v7, v7                                       // 000000006A40: 7E0E4107
	v_add_f32_e64 v4, v4, 1.0                                  // 000000006A44: D1010004 0001E504
	v_add_f32_e64 v5, v5, 1.0                                  // 000000006A4C: D1010005 0001E505
	v_add_f32_e64 v6, v6, 1.0                                  // 000000006A54: D1010006 0001E506
	v_add_f32_e64 v7, v7, 1.0                                  // 000000006A5C: D1010007 0001E507
	v_rcp_f32_e32 v4, v4                                       // 000000006A64: 7E084504
	v_rcp_f32_e32 v5, v5                                       // 000000006A68: 7E0A4505
	v_rcp_f32_e32 v6, v6                                       // 000000006A6C: 7E0C4506
	v_rcp_f32_e32 v7, v7                                       // 000000006A70: 7E0E4507
	v_mul_f32_e32 v80, v80, v4                                 // 000000006A74: 0AA00950
	v_mul_f32_e32 v81, v81, v5                                 // 000000006A78: 0AA20B51
	v_mul_f32_e32 v82, v82, v6                                 // 000000006A7C: 0AA40D52
	v_mul_f32_e32 v83, v83, v7                                 // 000000006A80: 0AA60F53
	v_mul_f32_e32 v80, v80, v160                               // 000000006A84: 0AA14150
	v_mul_f32_e32 v81, v81, v161                               // 000000006A88: 0AA34351
	v_mul_f32_e32 v82, v82, v162                               // 000000006A8C: 0AA54552
	v_mul_f32_e32 v83, v83, v163                               // 000000006A90: 0AA74753
	v_pk_mul_f32 v[4:5], v[84:85], v[84:85]                    // 000000006A94: D3B14004 1802A954
	v_pk_mul_f32 v[6:7], v[86:87], v[86:87]                    // 000000006A9C: D3B14006 1802AD56
	v_pk_fma_f32 v[4:5], v[4:5], s[78:79], v[8:9]              // 000000006AA4: D3B04004 1C209D04
	v_pk_fma_f32 v[6:7], v[6:7], s[78:79], v[8:9]              // 000000006AAC: D3B04006 1C209D06
	v_pk_mul_f32 v[4:5], v[4:5], v[84:85]                      // 000000006AB4: D3B14004 1802A904
	v_pk_mul_f32 v[6:7], v[6:7], v[86:87]                      // 000000006ABC: D3B14006 1802AD06
	v_pk_mul_f32 v[4:5], v[4:5], s[60:61]                      // 000000006AC4: D3B14004 18007904
	v_pk_mul_f32 v[6:7], v[6:7], s[60:61]                      // 000000006ACC: D3B14006 18007906
	v_exp_f32_e32 v4, v4                                       // 000000006AD4: 7E084104
	v_exp_f32_e32 v5, v5                                       // 000000006AD8: 7E0A4105
	v_exp_f32_e32 v6, v6                                       // 000000006ADC: 7E0C4106
	v_exp_f32_e32 v7, v7                                       // 000000006AE0: 7E0E4107
	v_add_f32_e64 v4, v4, 1.0                                  // 000000006AE4: D1010004 0001E504
	v_add_f32_e64 v5, v5, 1.0                                  // 000000006AEC: D1010005 0001E505
	v_add_f32_e64 v6, v6, 1.0                                  // 000000006AF4: D1010006 0001E506
	v_add_f32_e64 v7, v7, 1.0                                  // 000000006AFC: D1010007 0001E507
	v_rcp_f32_e32 v4, v4                                       // 000000006B04: 7E084504
	v_rcp_f32_e32 v5, v5                                       // 000000006B08: 7E0A4505
	v_rcp_f32_e32 v6, v6                                       // 000000006B0C: 7E0C4506
	v_rcp_f32_e32 v7, v7                                       // 000000006B10: 7E0E4507
	v_mul_f32_e32 v84, v84, v4                                 // 000000006B14: 0AA80954
	v_mul_f32_e32 v85, v85, v5                                 // 000000006B18: 0AAA0B55
	v_mul_f32_e32 v86, v86, v6                                 // 000000006B1C: 0AAC0D56
	v_mul_f32_e32 v87, v87, v7                                 // 000000006B20: 0AAE0F57
	v_mul_f32_e32 v84, v84, v164                               // 000000006B24: 0AA94954
	v_mul_f32_e32 v85, v85, v165                               // 000000006B28: 0AAB4B55
	v_mul_f32_e32 v86, v86, v166                               // 000000006B2C: 0AAD4D56
	v_mul_f32_e32 v87, v87, v167                               // 000000006B30: 0AAF4F57
	v_pk_mul_f32 v[4:5], v[88:89], v[88:89]                    // 000000006B34: D3B14004 1802B158
	v_pk_mul_f32 v[6:7], v[90:91], v[90:91]                    // 000000006B3C: D3B14006 1802B55A
	v_pk_fma_f32 v[4:5], v[4:5], s[78:79], v[8:9]              // 000000006B44: D3B04004 1C209D04
	v_pk_fma_f32 v[6:7], v[6:7], s[78:79], v[8:9]              // 000000006B4C: D3B04006 1C209D06
	v_pk_mul_f32 v[4:5], v[4:5], v[88:89]                      // 000000006B54: D3B14004 1802B104
	v_pk_mul_f32 v[6:7], v[6:7], v[90:91]                      // 000000006B5C: D3B14006 1802B506
	v_pk_mul_f32 v[4:5], v[4:5], s[60:61]                      // 000000006B64: D3B14004 18007904
	v_pk_mul_f32 v[6:7], v[6:7], s[60:61]                      // 000000006B6C: D3B14006 18007906
	v_exp_f32_e32 v4, v4                                       // 000000006B74: 7E084104
	v_exp_f32_e32 v5, v5                                       // 000000006B78: 7E0A4105
	v_exp_f32_e32 v6, v6                                       // 000000006B7C: 7E0C4106
	v_exp_f32_e32 v7, v7                                       // 000000006B80: 7E0E4107
	v_add_f32_e64 v4, v4, 1.0                                  // 000000006B84: D1010004 0001E504
	v_add_f32_e64 v5, v5, 1.0                                  // 000000006B8C: D1010005 0001E505
	v_add_f32_e64 v6, v6, 1.0                                  // 000000006B94: D1010006 0001E506
	v_add_f32_e64 v7, v7, 1.0                                  // 000000006B9C: D1010007 0001E507
	v_rcp_f32_e32 v4, v4                                       // 000000006BA4: 7E084504
	v_rcp_f32_e32 v5, v5                                       // 000000006BA8: 7E0A4505
	v_rcp_f32_e32 v6, v6                                       // 000000006BAC: 7E0C4506
	v_rcp_f32_e32 v7, v7                                       // 000000006BB0: 7E0E4507
	v_mul_f32_e32 v88, v88, v4                                 // 000000006BB4: 0AB00958
	v_mul_f32_e32 v89, v89, v5                                 // 000000006BB8: 0AB20B59
	v_mul_f32_e32 v90, v90, v6                                 // 000000006BBC: 0AB40D5A
	v_mul_f32_e32 v91, v91, v7                                 // 000000006BC0: 0AB60F5B
	v_mul_f32_e32 v88, v88, v168                               // 000000006BC4: 0AB15158
	v_mul_f32_e32 v89, v89, v169                               // 000000006BC8: 0AB35359
	v_mul_f32_e32 v90, v90, v170                               // 000000006BCC: 0AB5555A
	v_mul_f32_e32 v91, v91, v171                               // 000000006BD0: 0AB7575B
	v_pk_mul_f32 v[4:5], v[92:93], v[92:93]                    // 000000006BD4: D3B14004 1802B95C
	v_pk_mul_f32 v[6:7], v[94:95], v[94:95]                    // 000000006BDC: D3B14006 1802BD5E
	v_pk_fma_f32 v[4:5], v[4:5], s[78:79], v[8:9]              // 000000006BE4: D3B04004 1C209D04
	v_pk_fma_f32 v[6:7], v[6:7], s[78:79], v[8:9]              // 000000006BEC: D3B04006 1C209D06
	v_pk_mul_f32 v[4:5], v[4:5], v[92:93]                      // 000000006BF4: D3B14004 1802B904
	v_pk_mul_f32 v[6:7], v[6:7], v[94:95]                      // 000000006BFC: D3B14006 1802BD06
	v_pk_mul_f32 v[4:5], v[4:5], s[60:61]                      // 000000006C04: D3B14004 18007904
	v_pk_mul_f32 v[6:7], v[6:7], s[60:61]                      // 000000006C0C: D3B14006 18007906
	v_exp_f32_e32 v4, v4                                       // 000000006C14: 7E084104
	v_exp_f32_e32 v5, v5                                       // 000000006C18: 7E0A4105
	v_exp_f32_e32 v6, v6                                       // 000000006C1C: 7E0C4106
	v_exp_f32_e32 v7, v7                                       // 000000006C20: 7E0E4107
	v_add_f32_e64 v4, v4, 1.0                                  // 000000006C24: D1010004 0001E504
	v_add_f32_e64 v5, v5, 1.0                                  // 000000006C2C: D1010005 0001E505
	v_add_f32_e64 v6, v6, 1.0                                  // 000000006C34: D1010006 0001E506
	v_add_f32_e64 v7, v7, 1.0                                  // 000000006C3C: D1010007 0001E507
	v_rcp_f32_e32 v4, v4                                       // 000000006C44: 7E084504
	v_rcp_f32_e32 v5, v5                                       // 000000006C48: 7E0A4505
	v_rcp_f32_e32 v6, v6                                       // 000000006C4C: 7E0C4506
	v_rcp_f32_e32 v7, v7                                       // 000000006C50: 7E0E4507
	v_mul_f32_e32 v92, v92, v4                                 // 000000006C54: 0AB8095C
	v_mul_f32_e32 v93, v93, v5                                 // 000000006C58: 0ABA0B5D
	v_mul_f32_e32 v94, v94, v6                                 // 000000006C5C: 0ABC0D5E
	v_mul_f32_e32 v95, v95, v7                                 // 000000006C60: 0ABE0F5F
	v_mul_f32_e32 v92, v92, v172                               // 000000006C64: 0AB9595C
	v_mul_f32_e32 v93, v93, v173                               // 000000006C68: 0ABB5B5D
	v_mul_f32_e32 v94, v94, v174                               // 000000006C6C: 0ABD5D5E
	v_mul_f32_e32 v95, v95, v175                               // 000000006C70: 0ABF5F5F
	v_pk_mul_f32 v[4:5], v[96:97], v[96:97]                    // 000000006C74: D3B14004 1802C160
	v_pk_mul_f32 v[6:7], v[98:99], v[98:99]                    // 000000006C7C: D3B14006 1802C562
	v_pk_fma_f32 v[4:5], v[4:5], s[78:79], v[8:9]              // 000000006C84: D3B04004 1C209D04
	v_pk_fma_f32 v[6:7], v[6:7], s[78:79], v[8:9]              // 000000006C8C: D3B04006 1C209D06
	v_pk_mul_f32 v[4:5], v[4:5], v[96:97]                      // 000000006C94: D3B14004 1802C104
	v_pk_mul_f32 v[6:7], v[6:7], v[98:99]                      // 000000006C9C: D3B14006 1802C506
	v_pk_mul_f32 v[4:5], v[4:5], s[60:61]                      // 000000006CA4: D3B14004 18007904
	v_pk_mul_f32 v[6:7], v[6:7], s[60:61]                      // 000000006CAC: D3B14006 18007906
	v_exp_f32_e32 v4, v4                                       // 000000006CB4: 7E084104
	v_exp_f32_e32 v5, v5                                       // 000000006CB8: 7E0A4105
	v_exp_f32_e32 v6, v6                                       // 000000006CBC: 7E0C4106
	v_exp_f32_e32 v7, v7                                       // 000000006CC0: 7E0E4107
	v_add_f32_e64 v4, v4, 1.0                                  // 000000006CC4: D1010004 0001E504
	v_add_f32_e64 v5, v5, 1.0                                  // 000000006CCC: D1010005 0001E505
	v_add_f32_e64 v6, v6, 1.0                                  // 000000006CD4: D1010006 0001E506
	v_add_f32_e64 v7, v7, 1.0                                  // 000000006CDC: D1010007 0001E507
	v_rcp_f32_e32 v4, v4                                       // 000000006CE4: 7E084504
	v_rcp_f32_e32 v5, v5                                       // 000000006CE8: 7E0A4505
	v_rcp_f32_e32 v6, v6                                       // 000000006CEC: 7E0C4506
	v_rcp_f32_e32 v7, v7                                       // 000000006CF0: 7E0E4507
	v_mul_f32_e32 v96, v96, v4                                 // 000000006CF4: 0AC00960
	v_mul_f32_e32 v97, v97, v5                                 // 000000006CF8: 0AC20B61
	v_mul_f32_e32 v98, v98, v6                                 // 000000006CFC: 0AC40D62
	v_mul_f32_e32 v99, v99, v7                                 // 000000006D00: 0AC60F63
	v_mul_f32_e32 v96, v96, v176                               // 000000006D04: 0AC16160
	v_mul_f32_e32 v97, v97, v177                               // 000000006D08: 0AC36361
	v_mul_f32_e32 v98, v98, v178                               // 000000006D0C: 0AC56562
	v_mul_f32_e32 v99, v99, v179                               // 000000006D10: 0AC76763
	v_pk_mul_f32 v[4:5], v[100:101], v[100:101]                // 000000006D14: D3B14004 1802C964
	v_pk_mul_f32 v[6:7], v[102:103], v[102:103]                // 000000006D1C: D3B14006 1802CD66
	v_pk_fma_f32 v[4:5], v[4:5], s[78:79], v[8:9]              // 000000006D24: D3B04004 1C209D04
	v_pk_fma_f32 v[6:7], v[6:7], s[78:79], v[8:9]              // 000000006D2C: D3B04006 1C209D06
	v_pk_mul_f32 v[4:5], v[4:5], v[100:101]                    // 000000006D34: D3B14004 1802C904
	v_pk_mul_f32 v[6:7], v[6:7], v[102:103]                    // 000000006D3C: D3B14006 1802CD06
	v_pk_mul_f32 v[4:5], v[4:5], s[60:61]                      // 000000006D44: D3B14004 18007904
	v_pk_mul_f32 v[6:7], v[6:7], s[60:61]                      // 000000006D4C: D3B14006 18007906
	v_exp_f32_e32 v4, v4                                       // 000000006D54: 7E084104
	v_exp_f32_e32 v5, v5                                       // 000000006D58: 7E0A4105
	v_exp_f32_e32 v6, v6                                       // 000000006D5C: 7E0C4106
	v_exp_f32_e32 v7, v7                                       // 000000006D60: 7E0E4107
	v_add_f32_e64 v4, v4, 1.0                                  // 000000006D64: D1010004 0001E504
	v_add_f32_e64 v5, v5, 1.0                                  // 000000006D6C: D1010005 0001E505
	v_add_f32_e64 v6, v6, 1.0                                  // 000000006D74: D1010006 0001E506
	v_add_f32_e64 v7, v7, 1.0                                  // 000000006D7C: D1010007 0001E507
	v_rcp_f32_e32 v4, v4                                       // 000000006D84: 7E084504
	v_rcp_f32_e32 v5, v5                                       // 000000006D88: 7E0A4505
	v_rcp_f32_e32 v6, v6                                       // 000000006D8C: 7E0C4506
	v_rcp_f32_e32 v7, v7                                       // 000000006D90: 7E0E4507
	v_mul_f32_e32 v100, v100, v4                               // 000000006D94: 0AC80964
	v_mul_f32_e32 v101, v101, v5                               // 000000006D98: 0ACA0B65
	v_mul_f32_e32 v102, v102, v6                               // 000000006D9C: 0ACC0D66
	v_mul_f32_e32 v103, v103, v7                               // 000000006DA0: 0ACE0F67
	v_mul_f32_e32 v100, v100, v180                             // 000000006DA4: 0AC96964
	v_mul_f32_e32 v101, v101, v181                             // 000000006DA8: 0ACB6B65
	v_mul_f32_e32 v102, v102, v182                             // 000000006DAC: 0ACD6D66
	v_mul_f32_e32 v103, v103, v183                             // 000000006DB0: 0ACF6F67
	v_pk_mul_f32 v[4:5], v[104:105], v[104:105]                // 000000006DB4: D3B14004 1802D168
	v_pk_mul_f32 v[6:7], v[106:107], v[106:107]                // 000000006DBC: D3B14006 1802D56A
	v_pk_fma_f32 v[4:5], v[4:5], s[78:79], v[8:9]              // 000000006DC4: D3B04004 1C209D04
	v_pk_fma_f32 v[6:7], v[6:7], s[78:79], v[8:9]              // 000000006DCC: D3B04006 1C209D06
	v_pk_mul_f32 v[4:5], v[4:5], v[104:105]                    // 000000006DD4: D3B14004 1802D104
	v_pk_mul_f32 v[6:7], v[6:7], v[106:107]                    // 000000006DDC: D3B14006 1802D506
	v_pk_mul_f32 v[4:5], v[4:5], s[60:61]                      // 000000006DE4: D3B14004 18007904
	v_pk_mul_f32 v[6:7], v[6:7], s[60:61]                      // 000000006DEC: D3B14006 18007906
	v_exp_f32_e32 v4, v4                                       // 000000006DF4: 7E084104
	v_exp_f32_e32 v5, v5                                       // 000000006DF8: 7E0A4105
	v_exp_f32_e32 v6, v6                                       // 000000006DFC: 7E0C4106
	v_exp_f32_e32 v7, v7                                       // 000000006E00: 7E0E4107
	v_add_f32_e64 v4, v4, 1.0                                  // 000000006E04: D1010004 0001E504
	v_add_f32_e64 v5, v5, 1.0                                  // 000000006E0C: D1010005 0001E505
	v_add_f32_e64 v6, v6, 1.0                                  // 000000006E14: D1010006 0001E506
	v_add_f32_e64 v7, v7, 1.0                                  // 000000006E1C: D1010007 0001E507
	v_rcp_f32_e32 v4, v4                                       // 000000006E24: 7E084504
	v_rcp_f32_e32 v5, v5                                       // 000000006E28: 7E0A4505
	v_rcp_f32_e32 v6, v6                                       // 000000006E2C: 7E0C4506
	v_rcp_f32_e32 v7, v7                                       // 000000006E30: 7E0E4507
	v_mul_f32_e32 v104, v104, v4                               // 000000006E34: 0AD00968
	v_mul_f32_e32 v105, v105, v5                               // 000000006E38: 0AD20B69
	v_mul_f32_e32 v106, v106, v6                               // 000000006E3C: 0AD40D6A
	v_mul_f32_e32 v107, v107, v7                               // 000000006E40: 0AD60F6B
	v_mul_f32_e32 v104, v104, v184                             // 000000006E44: 0AD17168
	v_mul_f32_e32 v105, v105, v185                             // 000000006E48: 0AD37369
	v_mul_f32_e32 v106, v106, v186                             // 000000006E4C: 0AD5756A
	v_mul_f32_e32 v107, v107, v187                             // 000000006E50: 0AD7776B
	v_pk_mul_f32 v[4:5], v[108:109], v[108:109]                // 000000006E54: D3B14004 1802D96C
	v_pk_mul_f32 v[6:7], v[110:111], v[110:111]                // 000000006E5C: D3B14006 1802DD6E
	v_pk_fma_f32 v[4:5], v[4:5], s[78:79], v[8:9]              // 000000006E64: D3B04004 1C209D04
	v_pk_fma_f32 v[6:7], v[6:7], s[78:79], v[8:9]              // 000000006E6C: D3B04006 1C209D06
	v_pk_mul_f32 v[4:5], v[4:5], v[108:109]                    // 000000006E74: D3B14004 1802D904
	v_pk_mul_f32 v[6:7], v[6:7], v[110:111]                    // 000000006E7C: D3B14006 1802DD06
	v_pk_mul_f32 v[4:5], v[4:5], s[60:61]                      // 000000006E84: D3B14004 18007904
	v_pk_mul_f32 v[6:7], v[6:7], s[60:61]                      // 000000006E8C: D3B14006 18007906
	v_exp_f32_e32 v4, v4                                       // 000000006E94: 7E084104
	v_exp_f32_e32 v5, v5                                       // 000000006E98: 7E0A4105
	v_exp_f32_e32 v6, v6                                       // 000000006E9C: 7E0C4106
	v_exp_f32_e32 v7, v7                                       // 000000006EA0: 7E0E4107
	v_add_f32_e64 v4, v4, 1.0                                  // 000000006EA4: D1010004 0001E504
	v_add_f32_e64 v5, v5, 1.0                                  // 000000006EAC: D1010005 0001E505
	v_add_f32_e64 v6, v6, 1.0                                  // 000000006EB4: D1010006 0001E506
	v_add_f32_e64 v7, v7, 1.0                                  // 000000006EBC: D1010007 0001E507
	v_rcp_f32_e32 v4, v4                                       // 000000006EC4: 7E084504
	v_rcp_f32_e32 v5, v5                                       // 000000006EC8: 7E0A4505
	v_rcp_f32_e32 v6, v6                                       // 000000006ECC: 7E0C4506
	v_rcp_f32_e32 v7, v7                                       // 000000006ED0: 7E0E4507
	v_mul_f32_e32 v108, v108, v4                               // 000000006ED4: 0AD8096C
	v_mul_f32_e32 v109, v109, v5                               // 000000006ED8: 0ADA0B6D
	v_mul_f32_e32 v110, v110, v6                               // 000000006EDC: 0ADC0D6E
	v_mul_f32_e32 v111, v111, v7                               // 000000006EE0: 0ADE0F6F
	v_mul_f32_e32 v108, v108, v188                             // 000000006EE4: 0AD9796C
	v_mul_f32_e32 v109, v109, v189                             // 000000006EE8: 0ADB7B6D
	v_mul_f32_e32 v110, v110, v190                             // 000000006EEC: 0ADD7D6E
	v_mul_f32_e32 v111, v111, v191                             // 000000006EF0: 0ADF7F6F
	v_pk_mul_f32 v[4:5], v[112:113], v[112:113]                // 000000006EF4: D3B14004 1802E170
	v_pk_mul_f32 v[6:7], v[114:115], v[114:115]                // 000000006EFC: D3B14006 1802E572
	v_pk_fma_f32 v[4:5], v[4:5], s[78:79], v[8:9]              // 000000006F04: D3B04004 1C209D04
	v_pk_fma_f32 v[6:7], v[6:7], s[78:79], v[8:9]              // 000000006F0C: D3B04006 1C209D06
	v_pk_mul_f32 v[4:5], v[4:5], v[112:113]                    // 000000006F14: D3B14004 1802E104
	v_pk_mul_f32 v[6:7], v[6:7], v[114:115]                    // 000000006F1C: D3B14006 1802E506
	v_pk_mul_f32 v[4:5], v[4:5], s[60:61]                      // 000000006F24: D3B14004 18007904
	v_pk_mul_f32 v[6:7], v[6:7], s[60:61]                      // 000000006F2C: D3B14006 18007906
	v_exp_f32_e32 v4, v4                                       // 000000006F34: 7E084104
	v_exp_f32_e32 v5, v5                                       // 000000006F38: 7E0A4105
	v_exp_f32_e32 v6, v6                                       // 000000006F3C: 7E0C4106
	v_exp_f32_e32 v7, v7                                       // 000000006F40: 7E0E4107
	v_add_f32_e64 v4, v4, 1.0                                  // 000000006F44: D1010004 0001E504
	v_add_f32_e64 v5, v5, 1.0                                  // 000000006F4C: D1010005 0001E505
	v_add_f32_e64 v6, v6, 1.0                                  // 000000006F54: D1010006 0001E506
	v_add_f32_e64 v7, v7, 1.0                                  // 000000006F5C: D1010007 0001E507
	v_rcp_f32_e32 v4, v4                                       // 000000006F64: 7E084504
	v_rcp_f32_e32 v5, v5                                       // 000000006F68: 7E0A4505
	v_rcp_f32_e32 v6, v6                                       // 000000006F6C: 7E0C4506
	v_rcp_f32_e32 v7, v7                                       // 000000006F70: 7E0E4507
	v_mul_f32_e32 v112, v112, v4                               // 000000006F74: 0AE00970
	v_mul_f32_e32 v113, v113, v5                               // 000000006F78: 0AE20B71
	v_mul_f32_e32 v114, v114, v6                               // 000000006F7C: 0AE40D72
	v_mul_f32_e32 v115, v115, v7                               // 000000006F80: 0AE60F73
	v_mul_f32_e32 v112, v112, v192                             // 000000006F84: 0AE18170
	v_mul_f32_e32 v113, v113, v193                             // 000000006F88: 0AE38371
	v_mul_f32_e32 v114, v114, v194                             // 000000006F8C: 0AE58572
	v_mul_f32_e32 v115, v115, v195                             // 000000006F90: 0AE78773
	v_pk_mul_f32 v[4:5], v[116:117], v[116:117]                // 000000006F94: D3B14004 1802E974
	v_pk_mul_f32 v[6:7], v[118:119], v[118:119]                // 000000006F9C: D3B14006 1802ED76
	v_pk_fma_f32 v[4:5], v[4:5], s[78:79], v[8:9]              // 000000006FA4: D3B04004 1C209D04
	v_pk_fma_f32 v[6:7], v[6:7], s[78:79], v[8:9]              // 000000006FAC: D3B04006 1C209D06
	v_pk_mul_f32 v[4:5], v[4:5], v[116:117]                    // 000000006FB4: D3B14004 1802E904
	v_pk_mul_f32 v[6:7], v[6:7], v[118:119]                    // 000000006FBC: D3B14006 1802ED06
	v_pk_mul_f32 v[4:5], v[4:5], s[60:61]                      // 000000006FC4: D3B14004 18007904
	v_pk_mul_f32 v[6:7], v[6:7], s[60:61]                      // 000000006FCC: D3B14006 18007906
	v_exp_f32_e32 v4, v4                                       // 000000006FD4: 7E084104
	v_exp_f32_e32 v5, v5                                       // 000000006FD8: 7E0A4105
	v_exp_f32_e32 v6, v6                                       // 000000006FDC: 7E0C4106
	v_exp_f32_e32 v7, v7                                       // 000000006FE0: 7E0E4107
	v_add_f32_e64 v4, v4, 1.0                                  // 000000006FE4: D1010004 0001E504
	v_add_f32_e64 v5, v5, 1.0                                  // 000000006FEC: D1010005 0001E505
	v_add_f32_e64 v6, v6, 1.0                                  // 000000006FF4: D1010006 0001E506
	v_add_f32_e64 v7, v7, 1.0                                  // 000000006FFC: D1010007 0001E507
	v_rcp_f32_e32 v4, v4                                       // 000000007004: 7E084504
	v_rcp_f32_e32 v5, v5                                       // 000000007008: 7E0A4505
	v_rcp_f32_e32 v6, v6                                       // 00000000700C: 7E0C4506
	v_rcp_f32_e32 v7, v7                                       // 000000007010: 7E0E4507
	v_mul_f32_e32 v116, v116, v4                               // 000000007014: 0AE80974
	v_mul_f32_e32 v117, v117, v5                               // 000000007018: 0AEA0B75
	v_mul_f32_e32 v118, v118, v6                               // 00000000701C: 0AEC0D76
	v_mul_f32_e32 v119, v119, v7                               // 000000007020: 0AEE0F77
	v_mul_f32_e32 v116, v116, v196                             // 000000007024: 0AE98974
	v_mul_f32_e32 v117, v117, v197                             // 000000007028: 0AEB8B75
	v_mul_f32_e32 v118, v118, v198                             // 00000000702C: 0AED8D76
	v_mul_f32_e32 v119, v119, v199                             // 000000007030: 0AEF8F77
	v_pk_mul_f32 v[4:5], v[120:121], v[120:121]                // 000000007034: D3B14004 1802F178
	v_pk_mul_f32 v[6:7], v[122:123], v[122:123]                // 00000000703C: D3B14006 1802F57A
	v_pk_fma_f32 v[4:5], v[4:5], s[78:79], v[8:9]              // 000000007044: D3B04004 1C209D04
	v_pk_fma_f32 v[6:7], v[6:7], s[78:79], v[8:9]              // 00000000704C: D3B04006 1C209D06
	v_pk_mul_f32 v[4:5], v[4:5], v[120:121]                    // 000000007054: D3B14004 1802F104
	v_pk_mul_f32 v[6:7], v[6:7], v[122:123]                    // 00000000705C: D3B14006 1802F506
	v_pk_mul_f32 v[4:5], v[4:5], s[60:61]                      // 000000007064: D3B14004 18007904
	v_pk_mul_f32 v[6:7], v[6:7], s[60:61]                      // 00000000706C: D3B14006 18007906
	v_exp_f32_e32 v4, v4                                       // 000000007074: 7E084104
	v_exp_f32_e32 v5, v5                                       // 000000007078: 7E0A4105
	v_exp_f32_e32 v6, v6                                       // 00000000707C: 7E0C4106
	v_exp_f32_e32 v7, v7                                       // 000000007080: 7E0E4107
	v_add_f32_e64 v4, v4, 1.0                                  // 000000007084: D1010004 0001E504
	v_add_f32_e64 v5, v5, 1.0                                  // 00000000708C: D1010005 0001E505
	v_add_f32_e64 v6, v6, 1.0                                  // 000000007094: D1010006 0001E506
	v_add_f32_e64 v7, v7, 1.0                                  // 00000000709C: D1010007 0001E507
	v_rcp_f32_e32 v4, v4                                       // 0000000070A4: 7E084504
	v_rcp_f32_e32 v5, v5                                       // 0000000070A8: 7E0A4505
	v_rcp_f32_e32 v6, v6                                       // 0000000070AC: 7E0C4506
	v_rcp_f32_e32 v7, v7                                       // 0000000070B0: 7E0E4507
	v_mul_f32_e32 v120, v120, v4                               // 0000000070B4: 0AF00978
	v_mul_f32_e32 v121, v121, v5                               // 0000000070B8: 0AF20B79
	v_mul_f32_e32 v122, v122, v6                               // 0000000070BC: 0AF40D7A
	v_mul_f32_e32 v123, v123, v7                               // 0000000070C0: 0AF60F7B
	v_mul_f32_e32 v120, v120, v200                             // 0000000070C4: 0AF19178
	v_mul_f32_e32 v121, v121, v201                             // 0000000070C8: 0AF39379
	v_mul_f32_e32 v122, v122, v202                             // 0000000070CC: 0AF5957A
	v_mul_f32_e32 v123, v123, v203                             // 0000000070D0: 0AF7977B
	v_pk_mul_f32 v[4:5], v[124:125], v[124:125]                // 0000000070D4: D3B14004 1802F97C
	v_pk_mul_f32 v[6:7], v[126:127], v[126:127]                // 0000000070DC: D3B14006 1802FD7E
	v_pk_fma_f32 v[4:5], v[4:5], s[78:79], v[8:9]              // 0000000070E4: D3B04004 1C209D04
	v_pk_fma_f32 v[6:7], v[6:7], s[78:79], v[8:9]              // 0000000070EC: D3B04006 1C209D06
	v_pk_mul_f32 v[4:5], v[4:5], v[124:125]                    // 0000000070F4: D3B14004 1802F904
	v_pk_mul_f32 v[6:7], v[6:7], v[126:127]                    // 0000000070FC: D3B14006 1802FD06
	v_pk_mul_f32 v[4:5], v[4:5], s[60:61]                      // 000000007104: D3B14004 18007904
	v_pk_mul_f32 v[6:7], v[6:7], s[60:61]                      // 00000000710C: D3B14006 18007906
	v_exp_f32_e32 v4, v4                                       // 000000007114: 7E084104
	v_exp_f32_e32 v5, v5                                       // 000000007118: 7E0A4105
	v_exp_f32_e32 v6, v6                                       // 00000000711C: 7E0C4106
	v_exp_f32_e32 v7, v7                                       // 000000007120: 7E0E4107
	v_add_f32_e64 v4, v4, 1.0                                  // 000000007124: D1010004 0001E504
	v_add_f32_e64 v5, v5, 1.0                                  // 00000000712C: D1010005 0001E505
	v_add_f32_e64 v6, v6, 1.0                                  // 000000007134: D1010006 0001E506
	v_add_f32_e64 v7, v7, 1.0                                  // 00000000713C: D1010007 0001E507
	v_rcp_f32_e32 v4, v4                                       // 000000007144: 7E084504
	v_rcp_f32_e32 v5, v5                                       // 000000007148: 7E0A4505
	v_rcp_f32_e32 v6, v6                                       // 00000000714C: 7E0C4506
	v_rcp_f32_e32 v7, v7                                       // 000000007150: 7E0E4507
	v_mul_f32_e32 v124, v124, v4                               // 000000007154: 0AF8097C
	v_mul_f32_e32 v125, v125, v5                               // 000000007158: 0AFA0B7D
	v_mul_f32_e32 v126, v126, v6                               // 00000000715C: 0AFC0D7E
	v_mul_f32_e32 v127, v127, v7                               // 000000007160: 0AFE0F7F
	v_mul_f32_e32 v124, v124, v204                             // 000000007164: 0AF9997C
	v_mul_f32_e32 v125, v125, v205                             // 000000007168: 0AFB9B7D
	v_mul_f32_e32 v126, v126, v206                             // 00000000716C: 0AFD9D7E
	v_mul_f32_e32 v127, v127, v207                             // 000000007170: 0AFF9F7F
	v_pk_mul_f32 v[4:5], v[128:129], v[128:129]                // 000000007174: D3B14004 18030180
	v_pk_mul_f32 v[6:7], v[130:131], v[130:131]                // 00000000717C: D3B14006 18030582
	v_pk_fma_f32 v[4:5], v[4:5], s[78:79], v[8:9]              // 000000007184: D3B04004 1C209D04
	v_pk_fma_f32 v[6:7], v[6:7], s[78:79], v[8:9]              // 00000000718C: D3B04006 1C209D06
	v_pk_mul_f32 v[4:5], v[4:5], v[128:129]                    // 000000007194: D3B14004 18030104
	v_pk_mul_f32 v[6:7], v[6:7], v[130:131]                    // 00000000719C: D3B14006 18030506
	v_pk_mul_f32 v[4:5], v[4:5], s[60:61]                      // 0000000071A4: D3B14004 18007904
	v_pk_mul_f32 v[6:7], v[6:7], s[60:61]                      // 0000000071AC: D3B14006 18007906
	v_exp_f32_e32 v4, v4                                       // 0000000071B4: 7E084104
	v_exp_f32_e32 v5, v5                                       // 0000000071B8: 7E0A4105
	v_exp_f32_e32 v6, v6                                       // 0000000071BC: 7E0C4106
	v_exp_f32_e32 v7, v7                                       // 0000000071C0: 7E0E4107
	v_add_f32_e64 v4, v4, 1.0                                  // 0000000071C4: D1010004 0001E504
	v_add_f32_e64 v5, v5, 1.0                                  // 0000000071CC: D1010005 0001E505
	v_add_f32_e64 v6, v6, 1.0                                  // 0000000071D4: D1010006 0001E506
	v_add_f32_e64 v7, v7, 1.0                                  // 0000000071DC: D1010007 0001E507
	v_rcp_f32_e32 v4, v4                                       // 0000000071E4: 7E084504
	v_rcp_f32_e32 v5, v5                                       // 0000000071E8: 7E0A4505
	v_rcp_f32_e32 v6, v6                                       // 0000000071EC: 7E0C4506
	v_rcp_f32_e32 v7, v7                                       // 0000000071F0: 7E0E4507
	v_mul_f32_e32 v128, v128, v4                               // 0000000071F4: 0B000980
	v_mul_f32_e32 v129, v129, v5                               // 0000000071F8: 0B020B81
	v_mul_f32_e32 v130, v130, v6                               // 0000000071FC: 0B040D82
	v_mul_f32_e32 v131, v131, v7                               // 000000007200: 0B060F83
	v_mul_f32_e32 v128, v128, v208                             // 000000007204: 0B01A180
	v_mul_f32_e32 v129, v129, v209                             // 000000007208: 0B03A381
	v_mul_f32_e32 v130, v130, v210                             // 00000000720C: 0B05A582
	v_mul_f32_e32 v131, v131, v211                             // 000000007210: 0B07A783
	v_pk_mul_f32 v[4:5], v[132:133], v[132:133]                // 000000007214: D3B14004 18030984
	v_pk_mul_f32 v[6:7], v[134:135], v[134:135]                // 00000000721C: D3B14006 18030D86
	v_pk_fma_f32 v[4:5], v[4:5], s[78:79], v[8:9]              // 000000007224: D3B04004 1C209D04
	v_pk_fma_f32 v[6:7], v[6:7], s[78:79], v[8:9]              // 00000000722C: D3B04006 1C209D06
	v_pk_mul_f32 v[4:5], v[4:5], v[132:133]                    // 000000007234: D3B14004 18030904
	v_pk_mul_f32 v[6:7], v[6:7], v[134:135]                    // 00000000723C: D3B14006 18030D06
	v_pk_mul_f32 v[4:5], v[4:5], s[60:61]                      // 000000007244: D3B14004 18007904
	v_pk_mul_f32 v[6:7], v[6:7], s[60:61]                      // 00000000724C: D3B14006 18007906
	v_exp_f32_e32 v4, v4                                       // 000000007254: 7E084104
	v_exp_f32_e32 v5, v5                                       // 000000007258: 7E0A4105
	v_exp_f32_e32 v6, v6                                       // 00000000725C: 7E0C4106
	v_exp_f32_e32 v7, v7                                       // 000000007260: 7E0E4107
	v_add_f32_e64 v4, v4, 1.0                                  // 000000007264: D1010004 0001E504
	v_add_f32_e64 v5, v5, 1.0                                  // 00000000726C: D1010005 0001E505
	v_add_f32_e64 v6, v6, 1.0                                  // 000000007274: D1010006 0001E506
	v_add_f32_e64 v7, v7, 1.0                                  // 00000000727C: D1010007 0001E507
	v_rcp_f32_e32 v4, v4                                       // 000000007284: 7E084504
	v_rcp_f32_e32 v5, v5                                       // 000000007288: 7E0A4505
	v_rcp_f32_e32 v6, v6                                       // 00000000728C: 7E0C4506
	v_rcp_f32_e32 v7, v7                                       // 000000007290: 7E0E4507
	v_mul_f32_e32 v132, v132, v4                               // 000000007294: 0B080984
	v_mul_f32_e32 v133, v133, v5                               // 000000007298: 0B0A0B85
	v_mul_f32_e32 v134, v134, v6                               // 00000000729C: 0B0C0D86
	v_mul_f32_e32 v135, v135, v7                               // 0000000072A0: 0B0E0F87
	v_mul_f32_e32 v132, v132, v212                             // 0000000072A4: 0B09A984
	v_mul_f32_e32 v133, v133, v213                             // 0000000072A8: 0B0BAB85
	v_mul_f32_e32 v134, v134, v214                             // 0000000072AC: 0B0DAD86
	v_mul_f32_e32 v135, v135, v215                             // 0000000072B0: 0B0FAF87
	v_pk_mul_f32 v[4:5], v[136:137], v[136:137]                // 0000000072B4: D3B14004 18031188
	v_pk_mul_f32 v[6:7], v[138:139], v[138:139]                // 0000000072BC: D3B14006 1803158A
	v_pk_fma_f32 v[4:5], v[4:5], s[78:79], v[8:9]              // 0000000072C4: D3B04004 1C209D04
	v_pk_fma_f32 v[6:7], v[6:7], s[78:79], v[8:9]              // 0000000072CC: D3B04006 1C209D06
	v_pk_mul_f32 v[4:5], v[4:5], v[136:137]                    // 0000000072D4: D3B14004 18031104
	v_pk_mul_f32 v[6:7], v[6:7], v[138:139]                    // 0000000072DC: D3B14006 18031506
	v_pk_mul_f32 v[4:5], v[4:5], s[60:61]                      // 0000000072E4: D3B14004 18007904
	v_pk_mul_f32 v[6:7], v[6:7], s[60:61]                      // 0000000072EC: D3B14006 18007906
	v_exp_f32_e32 v4, v4                                       // 0000000072F4: 7E084104
	v_exp_f32_e32 v5, v5                                       // 0000000072F8: 7E0A4105
	v_exp_f32_e32 v6, v6                                       // 0000000072FC: 7E0C4106
	v_exp_f32_e32 v7, v7                                       // 000000007300: 7E0E4107
	v_add_f32_e64 v4, v4, 1.0                                  // 000000007304: D1010004 0001E504
	v_add_f32_e64 v5, v5, 1.0                                  // 00000000730C: D1010005 0001E505
	v_add_f32_e64 v6, v6, 1.0                                  // 000000007314: D1010006 0001E506
	v_add_f32_e64 v7, v7, 1.0                                  // 00000000731C: D1010007 0001E507
	v_rcp_f32_e32 v4, v4                                       // 000000007324: 7E084504
	v_rcp_f32_e32 v5, v5                                       // 000000007328: 7E0A4505
	v_rcp_f32_e32 v6, v6                                       // 00000000732C: 7E0C4506
	v_rcp_f32_e32 v7, v7                                       // 000000007330: 7E0E4507
	v_mul_f32_e32 v136, v136, v4                               // 000000007334: 0B100988
	v_mul_f32_e32 v137, v137, v5                               // 000000007338: 0B120B89
	v_mul_f32_e32 v138, v138, v6                               // 00000000733C: 0B140D8A
	v_mul_f32_e32 v139, v139, v7                               // 000000007340: 0B160F8B
	v_mul_f32_e32 v136, v136, v216                             // 000000007344: 0B11B188
	v_mul_f32_e32 v137, v137, v217                             // 000000007348: 0B13B389
	v_mul_f32_e32 v138, v138, v218                             // 00000000734C: 0B15B58A
	v_mul_f32_e32 v139, v139, v219                             // 000000007350: 0B17B78B
	v_pk_mul_f32 v[4:5], v[140:141], v[140:141]                // 000000007354: D3B14004 1803198C
	v_pk_mul_f32 v[6:7], v[142:143], v[142:143]                // 00000000735C: D3B14006 18031D8E
	v_pk_fma_f32 v[4:5], v[4:5], s[78:79], v[8:9]              // 000000007364: D3B04004 1C209D04
	v_pk_fma_f32 v[6:7], v[6:7], s[78:79], v[8:9]              // 00000000736C: D3B04006 1C209D06
	v_pk_mul_f32 v[4:5], v[4:5], v[140:141]                    // 000000007374: D3B14004 18031904
	v_pk_mul_f32 v[6:7], v[6:7], v[142:143]                    // 00000000737C: D3B14006 18031D06
	v_pk_mul_f32 v[4:5], v[4:5], s[60:61]                      // 000000007384: D3B14004 18007904
	v_pk_mul_f32 v[6:7], v[6:7], s[60:61]                      // 00000000738C: D3B14006 18007906
	v_exp_f32_e32 v4, v4                                       // 000000007394: 7E084104
	v_exp_f32_e32 v5, v5                                       // 000000007398: 7E0A4105
	v_exp_f32_e32 v6, v6                                       // 00000000739C: 7E0C4106
	v_exp_f32_e32 v7, v7                                       // 0000000073A0: 7E0E4107
	v_add_f32_e64 v4, v4, 1.0                                  // 0000000073A4: D1010004 0001E504
	v_add_f32_e64 v5, v5, 1.0                                  // 0000000073AC: D1010005 0001E505
	v_add_f32_e64 v6, v6, 1.0                                  // 0000000073B4: D1010006 0001E506
	v_add_f32_e64 v7, v7, 1.0                                  // 0000000073BC: D1010007 0001E507
	v_rcp_f32_e32 v4, v4                                       // 0000000073C4: 7E084504
	v_rcp_f32_e32 v5, v5                                       // 0000000073C8: 7E0A4505
	v_rcp_f32_e32 v6, v6                                       // 0000000073CC: 7E0C4506
	v_rcp_f32_e32 v7, v7                                       // 0000000073D0: 7E0E4507
	v_mul_f32_e32 v140, v140, v4                               // 0000000073D4: 0B18098C
	v_mul_f32_e32 v141, v141, v5                               // 0000000073D8: 0B1A0B8D
	v_mul_f32_e32 v142, v142, v6                               // 0000000073DC: 0B1C0D8E
	v_mul_f32_e32 v143, v143, v7                               // 0000000073E0: 0B1E0F8F
	v_mul_f32_e32 v140, v140, v220                             // 0000000073E4: 0B19B98C
	v_mul_f32_e32 v141, v141, v221                             // 0000000073E8: 0B1BBB8D
	v_mul_f32_e32 v142, v142, v222                             // 0000000073EC: 0B1DBD8E
	v_mul_f32_e32 v143, v143, v223                             // 0000000073F0: 0B1FBF8F
	s_branch label_14FE                                        // 0000000073F4: BF820280

00000000000073f8 <label_127E>:
	v_mul_f32_e64 v4, -v64, s6                                 // 0000000073F8: D1050004 20000D40
	v_mul_f32_e64 v5, -v65, s6                                 // 000000007400: D1050005 20000D41
	v_mul_f32_e64 v6, -v66, s6                                 // 000000007408: D1050006 20000D42
	v_mul_f32_e64 v7, -v67, s6                                 // 000000007410: D1050007 20000D43
	v_exp_f32_e32 v4, v4                                       // 000000007418: 7E084104
	v_exp_f32_e32 v5, v5                                       // 00000000741C: 7E0A4105
	v_exp_f32_e32 v6, v6                                       // 000000007420: 7E0C4106
	v_exp_f32_e32 v7, v7                                       // 000000007424: 7E0E4107
	v_add_f32_e64 v4, v4, 1.0                                  // 000000007428: D1010004 0001E504
	v_add_f32_e64 v5, v5, 1.0                                  // 000000007430: D1010005 0001E505
	v_add_f32_e64 v6, v6, 1.0                                  // 000000007438: D1010006 0001E506
	v_add_f32_e64 v7, v7, 1.0                                  // 000000007440: D1010007 0001E507
	v_rcp_f32_e32 v4, v4                                       // 000000007448: 7E084504
	v_rcp_f32_e32 v5, v5                                       // 00000000744C: 7E0A4505
	v_rcp_f32_e32 v6, v6                                       // 000000007450: 7E0C4506
	v_rcp_f32_e32 v7, v7                                       // 000000007454: 7E0E4507
	v_mul_f32_e32 v64, v64, v4                                 // 000000007458: 0A800940
	v_mul_f32_e32 v65, v65, v5                                 // 00000000745C: 0A820B41
	v_mul_f32_e32 v66, v66, v6                                 // 000000007460: 0A840D42
	v_mul_f32_e32 v67, v67, v7                                 // 000000007464: 0A860F43
	v_mul_f32_e32 v64, v64, v144                               // 000000007468: 0A812140
	v_mul_f32_e32 v65, v65, v145                               // 00000000746C: 0A832341
	v_mul_f32_e32 v66, v66, v146                               // 000000007470: 0A852542
	v_mul_f32_e32 v67, v67, v147                               // 000000007474: 0A872743
	v_mul_f32_e64 v4, -v68, s6                                 // 000000007478: D1050004 20000D44
	v_mul_f32_e64 v5, -v69, s6                                 // 000000007480: D1050005 20000D45
	v_mul_f32_e64 v6, -v70, s6                                 // 000000007488: D1050006 20000D46
	v_mul_f32_e64 v7, -v71, s6                                 // 000000007490: D1050007 20000D47
	v_exp_f32_e32 v4, v4                                       // 000000007498: 7E084104
	v_exp_f32_e32 v5, v5                                       // 00000000749C: 7E0A4105
	v_exp_f32_e32 v6, v6                                       // 0000000074A0: 7E0C4106
	v_exp_f32_e32 v7, v7                                       // 0000000074A4: 7E0E4107
	v_add_f32_e64 v4, v4, 1.0                                  // 0000000074A8: D1010004 0001E504
	v_add_f32_e64 v5, v5, 1.0                                  // 0000000074B0: D1010005 0001E505
	v_add_f32_e64 v6, v6, 1.0                                  // 0000000074B8: D1010006 0001E506
	v_add_f32_e64 v7, v7, 1.0                                  // 0000000074C0: D1010007 0001E507
	v_rcp_f32_e32 v4, v4                                       // 0000000074C8: 7E084504
	v_rcp_f32_e32 v5, v5                                       // 0000000074CC: 7E0A4505
	v_rcp_f32_e32 v6, v6                                       // 0000000074D0: 7E0C4506
	v_rcp_f32_e32 v7, v7                                       // 0000000074D4: 7E0E4507
	v_mul_f32_e32 v68, v68, v4                                 // 0000000074D8: 0A880944
	v_mul_f32_e32 v69, v69, v5                                 // 0000000074DC: 0A8A0B45
	v_mul_f32_e32 v70, v70, v6                                 // 0000000074E0: 0A8C0D46
	v_mul_f32_e32 v71, v71, v7                                 // 0000000074E4: 0A8E0F47
	v_mul_f32_e32 v68, v68, v148                               // 0000000074E8: 0A892944
	v_mul_f32_e32 v69, v69, v149                               // 0000000074EC: 0A8B2B45
	v_mul_f32_e32 v70, v70, v150                               // 0000000074F0: 0A8D2D46
	v_mul_f32_e32 v71, v71, v151                               // 0000000074F4: 0A8F2F47
	v_mul_f32_e64 v4, -v72, s6                                 // 0000000074F8: D1050004 20000D48
	v_mul_f32_e64 v5, -v73, s6                                 // 000000007500: D1050005 20000D49
	v_mul_f32_e64 v6, -v74, s6                                 // 000000007508: D1050006 20000D4A
	v_mul_f32_e64 v7, -v75, s6                                 // 000000007510: D1050007 20000D4B
	v_exp_f32_e32 v4, v4                                       // 000000007518: 7E084104
	v_exp_f32_e32 v5, v5                                       // 00000000751C: 7E0A4105
	v_exp_f32_e32 v6, v6                                       // 000000007520: 7E0C4106
	v_exp_f32_e32 v7, v7                                       // 000000007524: 7E0E4107
	v_add_f32_e64 v4, v4, 1.0                                  // 000000007528: D1010004 0001E504
	v_add_f32_e64 v5, v5, 1.0                                  // 000000007530: D1010005 0001E505
	v_add_f32_e64 v6, v6, 1.0                                  // 000000007538: D1010006 0001E506
	v_add_f32_e64 v7, v7, 1.0                                  // 000000007540: D1010007 0001E507
	v_rcp_f32_e32 v4, v4                                       // 000000007548: 7E084504
	v_rcp_f32_e32 v5, v5                                       // 00000000754C: 7E0A4505
	v_rcp_f32_e32 v6, v6                                       // 000000007550: 7E0C4506
	v_rcp_f32_e32 v7, v7                                       // 000000007554: 7E0E4507
	v_mul_f32_e32 v72, v72, v4                                 // 000000007558: 0A900948
	v_mul_f32_e32 v73, v73, v5                                 // 00000000755C: 0A920B49
	v_mul_f32_e32 v74, v74, v6                                 // 000000007560: 0A940D4A
	v_mul_f32_e32 v75, v75, v7                                 // 000000007564: 0A960F4B
	v_mul_f32_e32 v72, v72, v152                               // 000000007568: 0A913148
	v_mul_f32_e32 v73, v73, v153                               // 00000000756C: 0A933349
	v_mul_f32_e32 v74, v74, v154                               // 000000007570: 0A95354A
	v_mul_f32_e32 v75, v75, v155                               // 000000007574: 0A97374B
	v_mul_f32_e64 v4, -v76, s6                                 // 000000007578: D1050004 20000D4C
	v_mul_f32_e64 v5, -v77, s6                                 // 000000007580: D1050005 20000D4D
	v_mul_f32_e64 v6, -v78, s6                                 // 000000007588: D1050006 20000D4E
	v_mul_f32_e64 v7, -v79, s6                                 // 000000007590: D1050007 20000D4F
	v_exp_f32_e32 v4, v4                                       // 000000007598: 7E084104
	v_exp_f32_e32 v5, v5                                       // 00000000759C: 7E0A4105
	v_exp_f32_e32 v6, v6                                       // 0000000075A0: 7E0C4106
	v_exp_f32_e32 v7, v7                                       // 0000000075A4: 7E0E4107
	v_add_f32_e64 v4, v4, 1.0                                  // 0000000075A8: D1010004 0001E504
	v_add_f32_e64 v5, v5, 1.0                                  // 0000000075B0: D1010005 0001E505
	v_add_f32_e64 v6, v6, 1.0                                  // 0000000075B8: D1010006 0001E506
	v_add_f32_e64 v7, v7, 1.0                                  // 0000000075C0: D1010007 0001E507
	v_rcp_f32_e32 v4, v4                                       // 0000000075C8: 7E084504
	v_rcp_f32_e32 v5, v5                                       // 0000000075CC: 7E0A4505
	v_rcp_f32_e32 v6, v6                                       // 0000000075D0: 7E0C4506
	v_rcp_f32_e32 v7, v7                                       // 0000000075D4: 7E0E4507
	v_mul_f32_e32 v76, v76, v4                                 // 0000000075D8: 0A98094C
	v_mul_f32_e32 v77, v77, v5                                 // 0000000075DC: 0A9A0B4D
	v_mul_f32_e32 v78, v78, v6                                 // 0000000075E0: 0A9C0D4E
	v_mul_f32_e32 v79, v79, v7                                 // 0000000075E4: 0A9E0F4F
	v_mul_f32_e32 v76, v76, v156                               // 0000000075E8: 0A99394C
	v_mul_f32_e32 v77, v77, v157                               // 0000000075EC: 0A9B3B4D
	v_mul_f32_e32 v78, v78, v158                               // 0000000075F0: 0A9D3D4E
	v_mul_f32_e32 v79, v79, v159                               // 0000000075F4: 0A9F3F4F
	v_mul_f32_e64 v4, -v80, s6                                 // 0000000075F8: D1050004 20000D50
	v_mul_f32_e64 v5, -v81, s6                                 // 000000007600: D1050005 20000D51
	v_mul_f32_e64 v6, -v82, s6                                 // 000000007608: D1050006 20000D52
	v_mul_f32_e64 v7, -v83, s6                                 // 000000007610: D1050007 20000D53
	v_exp_f32_e32 v4, v4                                       // 000000007618: 7E084104
	v_exp_f32_e32 v5, v5                                       // 00000000761C: 7E0A4105
	v_exp_f32_e32 v6, v6                                       // 000000007620: 7E0C4106
	v_exp_f32_e32 v7, v7                                       // 000000007624: 7E0E4107
	v_add_f32_e64 v4, v4, 1.0                                  // 000000007628: D1010004 0001E504
	v_add_f32_e64 v5, v5, 1.0                                  // 000000007630: D1010005 0001E505
	v_add_f32_e64 v6, v6, 1.0                                  // 000000007638: D1010006 0001E506
	v_add_f32_e64 v7, v7, 1.0                                  // 000000007640: D1010007 0001E507
	v_rcp_f32_e32 v4, v4                                       // 000000007648: 7E084504
	v_rcp_f32_e32 v5, v5                                       // 00000000764C: 7E0A4505
	v_rcp_f32_e32 v6, v6                                       // 000000007650: 7E0C4506
	v_rcp_f32_e32 v7, v7                                       // 000000007654: 7E0E4507
	v_mul_f32_e32 v80, v80, v4                                 // 000000007658: 0AA00950
	v_mul_f32_e32 v81, v81, v5                                 // 00000000765C: 0AA20B51
	v_mul_f32_e32 v82, v82, v6                                 // 000000007660: 0AA40D52
	v_mul_f32_e32 v83, v83, v7                                 // 000000007664: 0AA60F53
	v_mul_f32_e32 v80, v80, v160                               // 000000007668: 0AA14150
	v_mul_f32_e32 v81, v81, v161                               // 00000000766C: 0AA34351
	v_mul_f32_e32 v82, v82, v162                               // 000000007670: 0AA54552
	v_mul_f32_e32 v83, v83, v163                               // 000000007674: 0AA74753
	v_mul_f32_e64 v4, -v84, s6                                 // 000000007678: D1050004 20000D54
	v_mul_f32_e64 v5, -v85, s6                                 // 000000007680: D1050005 20000D55
	v_mul_f32_e64 v6, -v86, s6                                 // 000000007688: D1050006 20000D56
	v_mul_f32_e64 v7, -v87, s6                                 // 000000007690: D1050007 20000D57
	v_exp_f32_e32 v4, v4                                       // 000000007698: 7E084104
	v_exp_f32_e32 v5, v5                                       // 00000000769C: 7E0A4105
	v_exp_f32_e32 v6, v6                                       // 0000000076A0: 7E0C4106
	v_exp_f32_e32 v7, v7                                       // 0000000076A4: 7E0E4107
	v_add_f32_e64 v4, v4, 1.0                                  // 0000000076A8: D1010004 0001E504
	v_add_f32_e64 v5, v5, 1.0                                  // 0000000076B0: D1010005 0001E505
	v_add_f32_e64 v6, v6, 1.0                                  // 0000000076B8: D1010006 0001E506
	v_add_f32_e64 v7, v7, 1.0                                  // 0000000076C0: D1010007 0001E507
	v_rcp_f32_e32 v4, v4                                       // 0000000076C8: 7E084504
	v_rcp_f32_e32 v5, v5                                       // 0000000076CC: 7E0A4505
	v_rcp_f32_e32 v6, v6                                       // 0000000076D0: 7E0C4506
	v_rcp_f32_e32 v7, v7                                       // 0000000076D4: 7E0E4507
	v_mul_f32_e32 v84, v84, v4                                 // 0000000076D8: 0AA80954
	v_mul_f32_e32 v85, v85, v5                                 // 0000000076DC: 0AAA0B55
	v_mul_f32_e32 v86, v86, v6                                 // 0000000076E0: 0AAC0D56
	v_mul_f32_e32 v87, v87, v7                                 // 0000000076E4: 0AAE0F57
	v_mul_f32_e32 v84, v84, v164                               // 0000000076E8: 0AA94954
	v_mul_f32_e32 v85, v85, v165                               // 0000000076EC: 0AAB4B55
	v_mul_f32_e32 v86, v86, v166                               // 0000000076F0: 0AAD4D56
	v_mul_f32_e32 v87, v87, v167                               // 0000000076F4: 0AAF4F57
	v_mul_f32_e64 v4, -v88, s6                                 // 0000000076F8: D1050004 20000D58
	v_mul_f32_e64 v5, -v89, s6                                 // 000000007700: D1050005 20000D59
	v_mul_f32_e64 v6, -v90, s6                                 // 000000007708: D1050006 20000D5A
	v_mul_f32_e64 v7, -v91, s6                                 // 000000007710: D1050007 20000D5B
	v_exp_f32_e32 v4, v4                                       // 000000007718: 7E084104
	v_exp_f32_e32 v5, v5                                       // 00000000771C: 7E0A4105
	v_exp_f32_e32 v6, v6                                       // 000000007720: 7E0C4106
	v_exp_f32_e32 v7, v7                                       // 000000007724: 7E0E4107
	v_add_f32_e64 v4, v4, 1.0                                  // 000000007728: D1010004 0001E504
	v_add_f32_e64 v5, v5, 1.0                                  // 000000007730: D1010005 0001E505
	v_add_f32_e64 v6, v6, 1.0                                  // 000000007738: D1010006 0001E506
	v_add_f32_e64 v7, v7, 1.0                                  // 000000007740: D1010007 0001E507
	v_rcp_f32_e32 v4, v4                                       // 000000007748: 7E084504
	v_rcp_f32_e32 v5, v5                                       // 00000000774C: 7E0A4505
	v_rcp_f32_e32 v6, v6                                       // 000000007750: 7E0C4506
	v_rcp_f32_e32 v7, v7                                       // 000000007754: 7E0E4507
	v_mul_f32_e32 v88, v88, v4                                 // 000000007758: 0AB00958
	v_mul_f32_e32 v89, v89, v5                                 // 00000000775C: 0AB20B59
	v_mul_f32_e32 v90, v90, v6                                 // 000000007760: 0AB40D5A
	v_mul_f32_e32 v91, v91, v7                                 // 000000007764: 0AB60F5B
	v_mul_f32_e32 v88, v88, v168                               // 000000007768: 0AB15158
	v_mul_f32_e32 v89, v89, v169                               // 00000000776C: 0AB35359
	v_mul_f32_e32 v90, v90, v170                               // 000000007770: 0AB5555A
	v_mul_f32_e32 v91, v91, v171                               // 000000007774: 0AB7575B
	v_mul_f32_e64 v4, -v92, s6                                 // 000000007778: D1050004 20000D5C
	v_mul_f32_e64 v5, -v93, s6                                 // 000000007780: D1050005 20000D5D
	v_mul_f32_e64 v6, -v94, s6                                 // 000000007788: D1050006 20000D5E
	v_mul_f32_e64 v7, -v95, s6                                 // 000000007790: D1050007 20000D5F
	v_exp_f32_e32 v4, v4                                       // 000000007798: 7E084104
	v_exp_f32_e32 v5, v5                                       // 00000000779C: 7E0A4105
	v_exp_f32_e32 v6, v6                                       // 0000000077A0: 7E0C4106
	v_exp_f32_e32 v7, v7                                       // 0000000077A4: 7E0E4107
	v_add_f32_e64 v4, v4, 1.0                                  // 0000000077A8: D1010004 0001E504
	v_add_f32_e64 v5, v5, 1.0                                  // 0000000077B0: D1010005 0001E505
	v_add_f32_e64 v6, v6, 1.0                                  // 0000000077B8: D1010006 0001E506
	v_add_f32_e64 v7, v7, 1.0                                  // 0000000077C0: D1010007 0001E507
	v_rcp_f32_e32 v4, v4                                       // 0000000077C8: 7E084504
	v_rcp_f32_e32 v5, v5                                       // 0000000077CC: 7E0A4505
	v_rcp_f32_e32 v6, v6                                       // 0000000077D0: 7E0C4506
	v_rcp_f32_e32 v7, v7                                       // 0000000077D4: 7E0E4507
	v_mul_f32_e32 v92, v92, v4                                 // 0000000077D8: 0AB8095C
	v_mul_f32_e32 v93, v93, v5                                 // 0000000077DC: 0ABA0B5D
	v_mul_f32_e32 v94, v94, v6                                 // 0000000077E0: 0ABC0D5E
	v_mul_f32_e32 v95, v95, v7                                 // 0000000077E4: 0ABE0F5F
	v_mul_f32_e32 v92, v92, v172                               // 0000000077E8: 0AB9595C
	v_mul_f32_e32 v93, v93, v173                               // 0000000077EC: 0ABB5B5D
	v_mul_f32_e32 v94, v94, v174                               // 0000000077F0: 0ABD5D5E
	v_mul_f32_e32 v95, v95, v175                               // 0000000077F4: 0ABF5F5F
	v_mul_f32_e64 v4, -v96, s6                                 // 0000000077F8: D1050004 20000D60
	v_mul_f32_e64 v5, -v97, s6                                 // 000000007800: D1050005 20000D61
	v_mul_f32_e64 v6, -v98, s6                                 // 000000007808: D1050006 20000D62
	v_mul_f32_e64 v7, -v99, s6                                 // 000000007810: D1050007 20000D63
	v_exp_f32_e32 v4, v4                                       // 000000007818: 7E084104
	v_exp_f32_e32 v5, v5                                       // 00000000781C: 7E0A4105
	v_exp_f32_e32 v6, v6                                       // 000000007820: 7E0C4106
	v_exp_f32_e32 v7, v7                                       // 000000007824: 7E0E4107
	v_add_f32_e64 v4, v4, 1.0                                  // 000000007828: D1010004 0001E504
	v_add_f32_e64 v5, v5, 1.0                                  // 000000007830: D1010005 0001E505
	v_add_f32_e64 v6, v6, 1.0                                  // 000000007838: D1010006 0001E506
	v_add_f32_e64 v7, v7, 1.0                                  // 000000007840: D1010007 0001E507
	v_rcp_f32_e32 v4, v4                                       // 000000007848: 7E084504
	v_rcp_f32_e32 v5, v5                                       // 00000000784C: 7E0A4505
	v_rcp_f32_e32 v6, v6                                       // 000000007850: 7E0C4506
	v_rcp_f32_e32 v7, v7                                       // 000000007854: 7E0E4507
	v_mul_f32_e32 v96, v96, v4                                 // 000000007858: 0AC00960
	v_mul_f32_e32 v97, v97, v5                                 // 00000000785C: 0AC20B61
	v_mul_f32_e32 v98, v98, v6                                 // 000000007860: 0AC40D62
	v_mul_f32_e32 v99, v99, v7                                 // 000000007864: 0AC60F63
	v_mul_f32_e32 v96, v96, v176                               // 000000007868: 0AC16160
	v_mul_f32_e32 v97, v97, v177                               // 00000000786C: 0AC36361
	v_mul_f32_e32 v98, v98, v178                               // 000000007870: 0AC56562
	v_mul_f32_e32 v99, v99, v179                               // 000000007874: 0AC76763
	v_mul_f32_e64 v4, -v100, s6                                // 000000007878: D1050004 20000D64
	v_mul_f32_e64 v5, -v101, s6                                // 000000007880: D1050005 20000D65
	v_mul_f32_e64 v6, -v102, s6                                // 000000007888: D1050006 20000D66
	v_mul_f32_e64 v7, -v103, s6                                // 000000007890: D1050007 20000D67
	v_exp_f32_e32 v4, v4                                       // 000000007898: 7E084104
	v_exp_f32_e32 v5, v5                                       // 00000000789C: 7E0A4105
	v_exp_f32_e32 v6, v6                                       // 0000000078A0: 7E0C4106
	v_exp_f32_e32 v7, v7                                       // 0000000078A4: 7E0E4107
	v_add_f32_e64 v4, v4, 1.0                                  // 0000000078A8: D1010004 0001E504
	v_add_f32_e64 v5, v5, 1.0                                  // 0000000078B0: D1010005 0001E505
	v_add_f32_e64 v6, v6, 1.0                                  // 0000000078B8: D1010006 0001E506
	v_add_f32_e64 v7, v7, 1.0                                  // 0000000078C0: D1010007 0001E507
	v_rcp_f32_e32 v4, v4                                       // 0000000078C8: 7E084504
	v_rcp_f32_e32 v5, v5                                       // 0000000078CC: 7E0A4505
	v_rcp_f32_e32 v6, v6                                       // 0000000078D0: 7E0C4506
	v_rcp_f32_e32 v7, v7                                       // 0000000078D4: 7E0E4507
	v_mul_f32_e32 v100, v100, v4                               // 0000000078D8: 0AC80964
	v_mul_f32_e32 v101, v101, v5                               // 0000000078DC: 0ACA0B65
	v_mul_f32_e32 v102, v102, v6                               // 0000000078E0: 0ACC0D66
	v_mul_f32_e32 v103, v103, v7                               // 0000000078E4: 0ACE0F67
	v_mul_f32_e32 v100, v100, v180                             // 0000000078E8: 0AC96964
	v_mul_f32_e32 v101, v101, v181                             // 0000000078EC: 0ACB6B65
	v_mul_f32_e32 v102, v102, v182                             // 0000000078F0: 0ACD6D66
	v_mul_f32_e32 v103, v103, v183                             // 0000000078F4: 0ACF6F67
	v_mul_f32_e64 v4, -v104, s6                                // 0000000078F8: D1050004 20000D68
	v_mul_f32_e64 v5, -v105, s6                                // 000000007900: D1050005 20000D69
	v_mul_f32_e64 v6, -v106, s6                                // 000000007908: D1050006 20000D6A
	v_mul_f32_e64 v7, -v107, s6                                // 000000007910: D1050007 20000D6B
	v_exp_f32_e32 v4, v4                                       // 000000007918: 7E084104
	v_exp_f32_e32 v5, v5                                       // 00000000791C: 7E0A4105
	v_exp_f32_e32 v6, v6                                       // 000000007920: 7E0C4106
	v_exp_f32_e32 v7, v7                                       // 000000007924: 7E0E4107
	v_add_f32_e64 v4, v4, 1.0                                  // 000000007928: D1010004 0001E504
	v_add_f32_e64 v5, v5, 1.0                                  // 000000007930: D1010005 0001E505
	v_add_f32_e64 v6, v6, 1.0                                  // 000000007938: D1010006 0001E506
	v_add_f32_e64 v7, v7, 1.0                                  // 000000007940: D1010007 0001E507
	v_rcp_f32_e32 v4, v4                                       // 000000007948: 7E084504
	v_rcp_f32_e32 v5, v5                                       // 00000000794C: 7E0A4505
	v_rcp_f32_e32 v6, v6                                       // 000000007950: 7E0C4506
	v_rcp_f32_e32 v7, v7                                       // 000000007954: 7E0E4507
	v_mul_f32_e32 v104, v104, v4                               // 000000007958: 0AD00968
	v_mul_f32_e32 v105, v105, v5                               // 00000000795C: 0AD20B69
	v_mul_f32_e32 v106, v106, v6                               // 000000007960: 0AD40D6A
	v_mul_f32_e32 v107, v107, v7                               // 000000007964: 0AD60F6B
	v_mul_f32_e32 v104, v104, v184                             // 000000007968: 0AD17168
	v_mul_f32_e32 v105, v105, v185                             // 00000000796C: 0AD37369
	v_mul_f32_e32 v106, v106, v186                             // 000000007970: 0AD5756A
	v_mul_f32_e32 v107, v107, v187                             // 000000007974: 0AD7776B
	v_mul_f32_e64 v4, -v108, s6                                // 000000007978: D1050004 20000D6C
	v_mul_f32_e64 v5, -v109, s6                                // 000000007980: D1050005 20000D6D
	v_mul_f32_e64 v6, -v110, s6                                // 000000007988: D1050006 20000D6E
	v_mul_f32_e64 v7, -v111, s6                                // 000000007990: D1050007 20000D6F
	v_exp_f32_e32 v4, v4                                       // 000000007998: 7E084104
	v_exp_f32_e32 v5, v5                                       // 00000000799C: 7E0A4105
	v_exp_f32_e32 v6, v6                                       // 0000000079A0: 7E0C4106
	v_exp_f32_e32 v7, v7                                       // 0000000079A4: 7E0E4107
	v_add_f32_e64 v4, v4, 1.0                                  // 0000000079A8: D1010004 0001E504
	v_add_f32_e64 v5, v5, 1.0                                  // 0000000079B0: D1010005 0001E505
	v_add_f32_e64 v6, v6, 1.0                                  // 0000000079B8: D1010006 0001E506
	v_add_f32_e64 v7, v7, 1.0                                  // 0000000079C0: D1010007 0001E507
	v_rcp_f32_e32 v4, v4                                       // 0000000079C8: 7E084504
	v_rcp_f32_e32 v5, v5                                       // 0000000079CC: 7E0A4505
	v_rcp_f32_e32 v6, v6                                       // 0000000079D0: 7E0C4506
	v_rcp_f32_e32 v7, v7                                       // 0000000079D4: 7E0E4507
	v_mul_f32_e32 v108, v108, v4                               // 0000000079D8: 0AD8096C
	v_mul_f32_e32 v109, v109, v5                               // 0000000079DC: 0ADA0B6D
	v_mul_f32_e32 v110, v110, v6                               // 0000000079E0: 0ADC0D6E
	v_mul_f32_e32 v111, v111, v7                               // 0000000079E4: 0ADE0F6F
	v_mul_f32_e32 v108, v108, v188                             // 0000000079E8: 0AD9796C
	v_mul_f32_e32 v109, v109, v189                             // 0000000079EC: 0ADB7B6D
	v_mul_f32_e32 v110, v110, v190                             // 0000000079F0: 0ADD7D6E
	v_mul_f32_e32 v111, v111, v191                             // 0000000079F4: 0ADF7F6F
	v_mul_f32_e64 v4, -v112, s6                                // 0000000079F8: D1050004 20000D70
	v_mul_f32_e64 v5, -v113, s6                                // 000000007A00: D1050005 20000D71
	v_mul_f32_e64 v6, -v114, s6                                // 000000007A08: D1050006 20000D72
	v_mul_f32_e64 v7, -v115, s6                                // 000000007A10: D1050007 20000D73
	v_exp_f32_e32 v4, v4                                       // 000000007A18: 7E084104
	v_exp_f32_e32 v5, v5                                       // 000000007A1C: 7E0A4105
	v_exp_f32_e32 v6, v6                                       // 000000007A20: 7E0C4106
	v_exp_f32_e32 v7, v7                                       // 000000007A24: 7E0E4107
	v_add_f32_e64 v4, v4, 1.0                                  // 000000007A28: D1010004 0001E504
	v_add_f32_e64 v5, v5, 1.0                                  // 000000007A30: D1010005 0001E505
	v_add_f32_e64 v6, v6, 1.0                                  // 000000007A38: D1010006 0001E506
	v_add_f32_e64 v7, v7, 1.0                                  // 000000007A40: D1010007 0001E507
	v_rcp_f32_e32 v4, v4                                       // 000000007A48: 7E084504
	v_rcp_f32_e32 v5, v5                                       // 000000007A4C: 7E0A4505
	v_rcp_f32_e32 v6, v6                                       // 000000007A50: 7E0C4506
	v_rcp_f32_e32 v7, v7                                       // 000000007A54: 7E0E4507
	v_mul_f32_e32 v112, v112, v4                               // 000000007A58: 0AE00970
	v_mul_f32_e32 v113, v113, v5                               // 000000007A5C: 0AE20B71
	v_mul_f32_e32 v114, v114, v6                               // 000000007A60: 0AE40D72
	v_mul_f32_e32 v115, v115, v7                               // 000000007A64: 0AE60F73
	v_mul_f32_e32 v112, v112, v192                             // 000000007A68: 0AE18170
	v_mul_f32_e32 v113, v113, v193                             // 000000007A6C: 0AE38371
	v_mul_f32_e32 v114, v114, v194                             // 000000007A70: 0AE58572
	v_mul_f32_e32 v115, v115, v195                             // 000000007A74: 0AE78773
	v_mul_f32_e64 v4, -v116, s6                                // 000000007A78: D1050004 20000D74
	v_mul_f32_e64 v5, -v117, s6                                // 000000007A80: D1050005 20000D75
	v_mul_f32_e64 v6, -v118, s6                                // 000000007A88: D1050006 20000D76
	v_mul_f32_e64 v7, -v119, s6                                // 000000007A90: D1050007 20000D77
	v_exp_f32_e32 v4, v4                                       // 000000007A98: 7E084104
	v_exp_f32_e32 v5, v5                                       // 000000007A9C: 7E0A4105
	v_exp_f32_e32 v6, v6                                       // 000000007AA0: 7E0C4106
	v_exp_f32_e32 v7, v7                                       // 000000007AA4: 7E0E4107
	v_add_f32_e64 v4, v4, 1.0                                  // 000000007AA8: D1010004 0001E504
	v_add_f32_e64 v5, v5, 1.0                                  // 000000007AB0: D1010005 0001E505
	v_add_f32_e64 v6, v6, 1.0                                  // 000000007AB8: D1010006 0001E506
	v_add_f32_e64 v7, v7, 1.0                                  // 000000007AC0: D1010007 0001E507
	v_rcp_f32_e32 v4, v4                                       // 000000007AC8: 7E084504
	v_rcp_f32_e32 v5, v5                                       // 000000007ACC: 7E0A4505
	v_rcp_f32_e32 v6, v6                                       // 000000007AD0: 7E0C4506
	v_rcp_f32_e32 v7, v7                                       // 000000007AD4: 7E0E4507
	v_mul_f32_e32 v116, v116, v4                               // 000000007AD8: 0AE80974
	v_mul_f32_e32 v117, v117, v5                               // 000000007ADC: 0AEA0B75
	v_mul_f32_e32 v118, v118, v6                               // 000000007AE0: 0AEC0D76
	v_mul_f32_e32 v119, v119, v7                               // 000000007AE4: 0AEE0F77
	v_mul_f32_e32 v116, v116, v196                             // 000000007AE8: 0AE98974
	v_mul_f32_e32 v117, v117, v197                             // 000000007AEC: 0AEB8B75
	v_mul_f32_e32 v118, v118, v198                             // 000000007AF0: 0AED8D76
	v_mul_f32_e32 v119, v119, v199                             // 000000007AF4: 0AEF8F77
	v_mul_f32_e64 v4, -v120, s6                                // 000000007AF8: D1050004 20000D78
	v_mul_f32_e64 v5, -v121, s6                                // 000000007B00: D1050005 20000D79
	v_mul_f32_e64 v6, -v122, s6                                // 000000007B08: D1050006 20000D7A
	v_mul_f32_e64 v7, -v123, s6                                // 000000007B10: D1050007 20000D7B
	v_exp_f32_e32 v4, v4                                       // 000000007B18: 7E084104
	v_exp_f32_e32 v5, v5                                       // 000000007B1C: 7E0A4105
	v_exp_f32_e32 v6, v6                                       // 000000007B20: 7E0C4106
	v_exp_f32_e32 v7, v7                                       // 000000007B24: 7E0E4107
	v_add_f32_e64 v4, v4, 1.0                                  // 000000007B28: D1010004 0001E504
	v_add_f32_e64 v5, v5, 1.0                                  // 000000007B30: D1010005 0001E505
	v_add_f32_e64 v6, v6, 1.0                                  // 000000007B38: D1010006 0001E506
	v_add_f32_e64 v7, v7, 1.0                                  // 000000007B40: D1010007 0001E507
	v_rcp_f32_e32 v4, v4                                       // 000000007B48: 7E084504
	v_rcp_f32_e32 v5, v5                                       // 000000007B4C: 7E0A4505
	v_rcp_f32_e32 v6, v6                                       // 000000007B50: 7E0C4506
	v_rcp_f32_e32 v7, v7                                       // 000000007B54: 7E0E4507
	v_mul_f32_e32 v120, v120, v4                               // 000000007B58: 0AF00978
	v_mul_f32_e32 v121, v121, v5                               // 000000007B5C: 0AF20B79
	v_mul_f32_e32 v122, v122, v6                               // 000000007B60: 0AF40D7A
	v_mul_f32_e32 v123, v123, v7                               // 000000007B64: 0AF60F7B
	v_mul_f32_e32 v120, v120, v200                             // 000000007B68: 0AF19178
	v_mul_f32_e32 v121, v121, v201                             // 000000007B6C: 0AF39379
	v_mul_f32_e32 v122, v122, v202                             // 000000007B70: 0AF5957A
	v_mul_f32_e32 v123, v123, v203                             // 000000007B74: 0AF7977B
	v_mul_f32_e64 v4, -v124, s6                                // 000000007B78: D1050004 20000D7C
	v_mul_f32_e64 v5, -v125, s6                                // 000000007B80: D1050005 20000D7D
	v_mul_f32_e64 v6, -v126, s6                                // 000000007B88: D1050006 20000D7E
	v_mul_f32_e64 v7, -v127, s6                                // 000000007B90: D1050007 20000D7F
	v_exp_f32_e32 v4, v4                                       // 000000007B98: 7E084104
	v_exp_f32_e32 v5, v5                                       // 000000007B9C: 7E0A4105
	v_exp_f32_e32 v6, v6                                       // 000000007BA0: 7E0C4106
	v_exp_f32_e32 v7, v7                                       // 000000007BA4: 7E0E4107
	v_add_f32_e64 v4, v4, 1.0                                  // 000000007BA8: D1010004 0001E504
	v_add_f32_e64 v5, v5, 1.0                                  // 000000007BB0: D1010005 0001E505
	v_add_f32_e64 v6, v6, 1.0                                  // 000000007BB8: D1010006 0001E506
	v_add_f32_e64 v7, v7, 1.0                                  // 000000007BC0: D1010007 0001E507
	v_rcp_f32_e32 v4, v4                                       // 000000007BC8: 7E084504
	v_rcp_f32_e32 v5, v5                                       // 000000007BCC: 7E0A4505
	v_rcp_f32_e32 v6, v6                                       // 000000007BD0: 7E0C4506
	v_rcp_f32_e32 v7, v7                                       // 000000007BD4: 7E0E4507
	v_mul_f32_e32 v124, v124, v4                               // 000000007BD8: 0AF8097C
	v_mul_f32_e32 v125, v125, v5                               // 000000007BDC: 0AFA0B7D
	v_mul_f32_e32 v126, v126, v6                               // 000000007BE0: 0AFC0D7E
	v_mul_f32_e32 v127, v127, v7                               // 000000007BE4: 0AFE0F7F
	v_mul_f32_e32 v124, v124, v204                             // 000000007BE8: 0AF9997C
	v_mul_f32_e32 v125, v125, v205                             // 000000007BEC: 0AFB9B7D
	v_mul_f32_e32 v126, v126, v206                             // 000000007BF0: 0AFD9D7E
	v_mul_f32_e32 v127, v127, v207                             // 000000007BF4: 0AFF9F7F
	v_mul_f32_e64 v4, -v128, s6                                // 000000007BF8: D1050004 20000D80
	v_mul_f32_e64 v5, -v129, s6                                // 000000007C00: D1050005 20000D81
	v_mul_f32_e64 v6, -v130, s6                                // 000000007C08: D1050006 20000D82
	v_mul_f32_e64 v7, -v131, s6                                // 000000007C10: D1050007 20000D83
	v_exp_f32_e32 v4, v4                                       // 000000007C18: 7E084104
	v_exp_f32_e32 v5, v5                                       // 000000007C1C: 7E0A4105
	v_exp_f32_e32 v6, v6                                       // 000000007C20: 7E0C4106
	v_exp_f32_e32 v7, v7                                       // 000000007C24: 7E0E4107
	v_add_f32_e64 v4, v4, 1.0                                  // 000000007C28: D1010004 0001E504
	v_add_f32_e64 v5, v5, 1.0                                  // 000000007C30: D1010005 0001E505
	v_add_f32_e64 v6, v6, 1.0                                  // 000000007C38: D1010006 0001E506
	v_add_f32_e64 v7, v7, 1.0                                  // 000000007C40: D1010007 0001E507
	v_rcp_f32_e32 v4, v4                                       // 000000007C48: 7E084504
	v_rcp_f32_e32 v5, v5                                       // 000000007C4C: 7E0A4505
	v_rcp_f32_e32 v6, v6                                       // 000000007C50: 7E0C4506
	v_rcp_f32_e32 v7, v7                                       // 000000007C54: 7E0E4507
	v_mul_f32_e32 v128, v128, v4                               // 000000007C58: 0B000980
	v_mul_f32_e32 v129, v129, v5                               // 000000007C5C: 0B020B81
	v_mul_f32_e32 v130, v130, v6                               // 000000007C60: 0B040D82
	v_mul_f32_e32 v131, v131, v7                               // 000000007C64: 0B060F83
	v_mul_f32_e32 v128, v128, v208                             // 000000007C68: 0B01A180
	v_mul_f32_e32 v129, v129, v209                             // 000000007C6C: 0B03A381
	v_mul_f32_e32 v130, v130, v210                             // 000000007C70: 0B05A582
	v_mul_f32_e32 v131, v131, v211                             // 000000007C74: 0B07A783
	v_mul_f32_e64 v4, -v132, s6                                // 000000007C78: D1050004 20000D84
	v_mul_f32_e64 v5, -v133, s6                                // 000000007C80: D1050005 20000D85
	v_mul_f32_e64 v6, -v134, s6                                // 000000007C88: D1050006 20000D86
	v_mul_f32_e64 v7, -v135, s6                                // 000000007C90: D1050007 20000D87
	v_exp_f32_e32 v4, v4                                       // 000000007C98: 7E084104
	v_exp_f32_e32 v5, v5                                       // 000000007C9C: 7E0A4105
	v_exp_f32_e32 v6, v6                                       // 000000007CA0: 7E0C4106
	v_exp_f32_e32 v7, v7                                       // 000000007CA4: 7E0E4107
	v_add_f32_e64 v4, v4, 1.0                                  // 000000007CA8: D1010004 0001E504
	v_add_f32_e64 v5, v5, 1.0                                  // 000000007CB0: D1010005 0001E505
	v_add_f32_e64 v6, v6, 1.0                                  // 000000007CB8: D1010006 0001E506
	v_add_f32_e64 v7, v7, 1.0                                  // 000000007CC0: D1010007 0001E507
	v_rcp_f32_e32 v4, v4                                       // 000000007CC8: 7E084504
	v_rcp_f32_e32 v5, v5                                       // 000000007CCC: 7E0A4505
	v_rcp_f32_e32 v6, v6                                       // 000000007CD0: 7E0C4506
	v_rcp_f32_e32 v7, v7                                       // 000000007CD4: 7E0E4507
	v_mul_f32_e32 v132, v132, v4                               // 000000007CD8: 0B080984
	v_mul_f32_e32 v133, v133, v5                               // 000000007CDC: 0B0A0B85
	v_mul_f32_e32 v134, v134, v6                               // 000000007CE0: 0B0C0D86
	v_mul_f32_e32 v135, v135, v7                               // 000000007CE4: 0B0E0F87
	v_mul_f32_e32 v132, v132, v212                             // 000000007CE8: 0B09A984
	v_mul_f32_e32 v133, v133, v213                             // 000000007CEC: 0B0BAB85
	v_mul_f32_e32 v134, v134, v214                             // 000000007CF0: 0B0DAD86
	v_mul_f32_e32 v135, v135, v215                             // 000000007CF4: 0B0FAF87
	v_mul_f32_e64 v4, -v136, s6                                // 000000007CF8: D1050004 20000D88
	v_mul_f32_e64 v5, -v137, s6                                // 000000007D00: D1050005 20000D89
	v_mul_f32_e64 v6, -v138, s6                                // 000000007D08: D1050006 20000D8A
	v_mul_f32_e64 v7, -v139, s6                                // 000000007D10: D1050007 20000D8B
	v_exp_f32_e32 v4, v4                                       // 000000007D18: 7E084104
	v_exp_f32_e32 v5, v5                                       // 000000007D1C: 7E0A4105
	v_exp_f32_e32 v6, v6                                       // 000000007D20: 7E0C4106
	v_exp_f32_e32 v7, v7                                       // 000000007D24: 7E0E4107
	v_add_f32_e64 v4, v4, 1.0                                  // 000000007D28: D1010004 0001E504
	v_add_f32_e64 v5, v5, 1.0                                  // 000000007D30: D1010005 0001E505
	v_add_f32_e64 v6, v6, 1.0                                  // 000000007D38: D1010006 0001E506
	v_add_f32_e64 v7, v7, 1.0                                  // 000000007D40: D1010007 0001E507
	v_rcp_f32_e32 v4, v4                                       // 000000007D48: 7E084504
	v_rcp_f32_e32 v5, v5                                       // 000000007D4C: 7E0A4505
	v_rcp_f32_e32 v6, v6                                       // 000000007D50: 7E0C4506
	v_rcp_f32_e32 v7, v7                                       // 000000007D54: 7E0E4507
	v_mul_f32_e32 v136, v136, v4                               // 000000007D58: 0B100988
	v_mul_f32_e32 v137, v137, v5                               // 000000007D5C: 0B120B89
	v_mul_f32_e32 v138, v138, v6                               // 000000007D60: 0B140D8A
	v_mul_f32_e32 v139, v139, v7                               // 000000007D64: 0B160F8B
	v_mul_f32_e32 v136, v136, v216                             // 000000007D68: 0B11B188
	v_mul_f32_e32 v137, v137, v217                             // 000000007D6C: 0B13B389
	v_mul_f32_e32 v138, v138, v218                             // 000000007D70: 0B15B58A
	v_mul_f32_e32 v139, v139, v219                             // 000000007D74: 0B17B78B
	v_mul_f32_e64 v4, -v140, s6                                // 000000007D78: D1050004 20000D8C
	v_mul_f32_e64 v5, -v141, s6                                // 000000007D80: D1050005 20000D8D
	v_mul_f32_e64 v6, -v142, s6                                // 000000007D88: D1050006 20000D8E
	v_mul_f32_e64 v7, -v143, s6                                // 000000007D90: D1050007 20000D8F
	v_exp_f32_e32 v4, v4                                       // 000000007D98: 7E084104
	v_exp_f32_e32 v5, v5                                       // 000000007D9C: 7E0A4105
	v_exp_f32_e32 v6, v6                                       // 000000007DA0: 7E0C4106
	v_exp_f32_e32 v7, v7                                       // 000000007DA4: 7E0E4107
	v_add_f32_e64 v4, v4, 1.0                                  // 000000007DA8: D1010004 0001E504
	v_add_f32_e64 v5, v5, 1.0                                  // 000000007DB0: D1010005 0001E505
	v_add_f32_e64 v6, v6, 1.0                                  // 000000007DB8: D1010006 0001E506
	v_add_f32_e64 v7, v7, 1.0                                  // 000000007DC0: D1010007 0001E507
	v_rcp_f32_e32 v4, v4                                       // 000000007DC8: 7E084504
	v_rcp_f32_e32 v5, v5                                       // 000000007DCC: 7E0A4505
	v_rcp_f32_e32 v6, v6                                       // 000000007DD0: 7E0C4506
	v_rcp_f32_e32 v7, v7                                       // 000000007DD4: 7E0E4507
	v_mul_f32_e32 v140, v140, v4                               // 000000007DD8: 0B18098C
	v_mul_f32_e32 v141, v141, v5                               // 000000007DDC: 0B1A0B8D
	v_mul_f32_e32 v142, v142, v6                               // 000000007DE0: 0B1C0D8E
	v_mul_f32_e32 v143, v143, v7                               // 000000007DE4: 0B1E0F8F
	v_mul_f32_e32 v140, v140, v220                             // 000000007DE8: 0B19B98C
	v_mul_f32_e32 v141, v141, v221                             // 000000007DEC: 0B1BBB8D
	v_mul_f32_e32 v142, v142, v222                             // 000000007DF0: 0B1DBD8E
	v_mul_f32_e32 v143, v143, v223                             // 000000007DF4: 0B1FBF8F

0000000000007df8 <label_14FE>:
	v_cmp_u_f32_e64 s[46:47], v64, v64                         // 000000007DF8: D048002E 00028140
	v_add3_u32 v16, v64, v19, 1                                // 000000007E00: D1FF0010 02062740
	v_cndmask_b32_e64 v4, v16, v18, s[46:47]                   // 000000007E08: D1000004 00BA2510
	v_cmp_u_f32_e64 s[46:47], v65, v65                         // 000000007E10: D048002E 00028341
	v_add3_u32 v16, v65, v19, 1                                // 000000007E18: D1FF0010 02062741
	v_cndmask_b32_e64 v5, v16, v18, s[46:47]                   // 000000007E20: D1000005 00BA2510
	v_perm_b32 v64, v5, v4, s52                                // 000000007E28: D1ED0040 00D20905
	v_cmp_u_f32_e64 s[46:47], v66, v66                         // 000000007E30: D048002E 00028542
	v_add3_u32 v16, v66, v19, 1                                // 000000007E38: D1FF0010 02062742
	v_cndmask_b32_e64 v4, v16, v18, s[46:47]                   // 000000007E40: D1000004 00BA2510
	v_cmp_u_f32_e64 s[46:47], v67, v67                         // 000000007E48: D048002E 00028743
	v_add3_u32 v16, v67, v19, 1                                // 000000007E50: D1FF0010 02062743
	v_cndmask_b32_e64 v5, v16, v18, s[46:47]                   // 000000007E58: D1000005 00BA2510
	v_perm_b32 v65, v5, v4, s52                                // 000000007E60: D1ED0041 00D20905
	v_cmp_u_f32_e64 s[46:47], v68, v68                         // 000000007E68: D048002E 00028944
	v_add3_u32 v16, v68, v19, 1                                // 000000007E70: D1FF0010 02062744
	v_cndmask_b32_e64 v4, v16, v18, s[46:47]                   // 000000007E78: D1000004 00BA2510
	v_cmp_u_f32_e64 s[46:47], v69, v69                         // 000000007E80: D048002E 00028B45
	v_add3_u32 v16, v69, v19, 1                                // 000000007E88: D1FF0010 02062745
	v_cndmask_b32_e64 v5, v16, v18, s[46:47]                   // 000000007E90: D1000005 00BA2510
	v_perm_b32 v66, v5, v4, s52                                // 000000007E98: D1ED0042 00D20905
	v_cmp_u_f32_e64 s[46:47], v70, v70                         // 000000007EA0: D048002E 00028D46
	v_add3_u32 v16, v70, v19, 1                                // 000000007EA8: D1FF0010 02062746
	v_cndmask_b32_e64 v4, v16, v18, s[46:47]                   // 000000007EB0: D1000004 00BA2510
	v_cmp_u_f32_e64 s[46:47], v71, v71                         // 000000007EB8: D048002E 00028F47
	v_add3_u32 v16, v71, v19, 1                                // 000000007EC0: D1FF0010 02062747
	v_cndmask_b32_e64 v5, v16, v18, s[46:47]                   // 000000007EC8: D1000005 00BA2510
	v_perm_b32 v67, v5, v4, s52                                // 000000007ED0: D1ED0043 00D20905
	v_cmp_u_f32_e64 s[46:47], v72, v72                         // 000000007ED8: D048002E 00029148
	v_add3_u32 v16, v72, v19, 1                                // 000000007EE0: D1FF0010 02062748
	v_cndmask_b32_e64 v4, v16, v18, s[46:47]                   // 000000007EE8: D1000004 00BA2510
	v_cmp_u_f32_e64 s[46:47], v73, v73                         // 000000007EF0: D048002E 00029349
	v_add3_u32 v16, v73, v19, 1                                // 000000007EF8: D1FF0010 02062749
	v_cndmask_b32_e64 v5, v16, v18, s[46:47]                   // 000000007F00: D1000005 00BA2510
	v_perm_b32 v68, v5, v4, s52                                // 000000007F08: D1ED0044 00D20905
	v_cmp_u_f32_e64 s[46:47], v74, v74                         // 000000007F10: D048002E 0002954A
	v_add3_u32 v16, v74, v19, 1                                // 000000007F18: D1FF0010 0206274A
	v_cndmask_b32_e64 v4, v16, v18, s[46:47]                   // 000000007F20: D1000004 00BA2510
	v_cmp_u_f32_e64 s[46:47], v75, v75                         // 000000007F28: D048002E 0002974B
	v_add3_u32 v16, v75, v19, 1                                // 000000007F30: D1FF0010 0206274B
	v_cndmask_b32_e64 v5, v16, v18, s[46:47]                   // 000000007F38: D1000005 00BA2510
	v_perm_b32 v69, v5, v4, s52                                // 000000007F40: D1ED0045 00D20905
	v_cmp_u_f32_e64 s[46:47], v76, v76                         // 000000007F48: D048002E 0002994C
	v_add3_u32 v16, v76, v19, 1                                // 000000007F50: D1FF0010 0206274C
	v_cndmask_b32_e64 v4, v16, v18, s[46:47]                   // 000000007F58: D1000004 00BA2510
	v_cmp_u_f32_e64 s[46:47], v77, v77                         // 000000007F60: D048002E 00029B4D
	v_add3_u32 v16, v77, v19, 1                                // 000000007F68: D1FF0010 0206274D
	v_cndmask_b32_e64 v5, v16, v18, s[46:47]                   // 000000007F70: D1000005 00BA2510
	v_perm_b32 v70, v5, v4, s52                                // 000000007F78: D1ED0046 00D20905
	v_cmp_u_f32_e64 s[46:47], v78, v78                         // 000000007F80: D048002E 00029D4E
	v_add3_u32 v16, v78, v19, 1                                // 000000007F88: D1FF0010 0206274E
	v_cndmask_b32_e64 v4, v16, v18, s[46:47]                   // 000000007F90: D1000004 00BA2510
	v_cmp_u_f32_e64 s[46:47], v79, v79                         // 000000007F98: D048002E 00029F4F
	v_add3_u32 v16, v79, v19, 1                                // 000000007FA0: D1FF0010 0206274F
	v_cndmask_b32_e64 v5, v16, v18, s[46:47]                   // 000000007FA8: D1000005 00BA2510
	v_perm_b32 v71, v5, v4, s52                                // 000000007FB0: D1ED0047 00D20905
	v_cmp_u_f32_e64 s[46:47], v80, v80                         // 000000007FB8: D048002E 0002A150
	v_add3_u32 v16, v80, v19, 1                                // 000000007FC0: D1FF0010 02062750
	v_cndmask_b32_e64 v4, v16, v18, s[46:47]                   // 000000007FC8: D1000004 00BA2510
	v_cmp_u_f32_e64 s[46:47], v81, v81                         // 000000007FD0: D048002E 0002A351
	v_add3_u32 v16, v81, v19, 1                                // 000000007FD8: D1FF0010 02062751
	v_cndmask_b32_e64 v5, v16, v18, s[46:47]                   // 000000007FE0: D1000005 00BA2510
	v_perm_b32 v72, v5, v4, s52                                // 000000007FE8: D1ED0048 00D20905
	v_cmp_u_f32_e64 s[46:47], v82, v82                         // 000000007FF0: D048002E 0002A552
	v_add3_u32 v16, v82, v19, 1                                // 000000007FF8: D1FF0010 02062752
	v_cndmask_b32_e64 v4, v16, v18, s[46:47]                   // 000000008000: D1000004 00BA2510
	v_cmp_u_f32_e64 s[46:47], v83, v83                         // 000000008008: D048002E 0002A753
	v_add3_u32 v16, v83, v19, 1                                // 000000008010: D1FF0010 02062753
	v_cndmask_b32_e64 v5, v16, v18, s[46:47]                   // 000000008018: D1000005 00BA2510
	v_perm_b32 v73, v5, v4, s52                                // 000000008020: D1ED0049 00D20905
	v_cmp_u_f32_e64 s[46:47], v84, v84                         // 000000008028: D048002E 0002A954
	v_add3_u32 v16, v84, v19, 1                                // 000000008030: D1FF0010 02062754
	v_cndmask_b32_e64 v4, v16, v18, s[46:47]                   // 000000008038: D1000004 00BA2510
	v_cmp_u_f32_e64 s[46:47], v85, v85                         // 000000008040: D048002E 0002AB55
	v_add3_u32 v16, v85, v19, 1                                // 000000008048: D1FF0010 02062755
	v_cndmask_b32_e64 v5, v16, v18, s[46:47]                   // 000000008050: D1000005 00BA2510
	v_perm_b32 v74, v5, v4, s52                                // 000000008058: D1ED004A 00D20905
	v_cmp_u_f32_e64 s[46:47], v86, v86                         // 000000008060: D048002E 0002AD56
	v_add3_u32 v16, v86, v19, 1                                // 000000008068: D1FF0010 02062756
	v_cndmask_b32_e64 v4, v16, v18, s[46:47]                   // 000000008070: D1000004 00BA2510
	v_cmp_u_f32_e64 s[46:47], v87, v87                         // 000000008078: D048002E 0002AF57
	v_add3_u32 v16, v87, v19, 1                                // 000000008080: D1FF0010 02062757
	v_cndmask_b32_e64 v5, v16, v18, s[46:47]                   // 000000008088: D1000005 00BA2510
	v_perm_b32 v75, v5, v4, s52                                // 000000008090: D1ED004B 00D20905
	v_cmp_u_f32_e64 s[46:47], v88, v88                         // 000000008098: D048002E 0002B158
	v_add3_u32 v16, v88, v19, 1                                // 0000000080A0: D1FF0010 02062758
	v_cndmask_b32_e64 v4, v16, v18, s[46:47]                   // 0000000080A8: D1000004 00BA2510
	v_cmp_u_f32_e64 s[46:47], v89, v89                         // 0000000080B0: D048002E 0002B359
	v_add3_u32 v16, v89, v19, 1                                // 0000000080B8: D1FF0010 02062759
	v_cndmask_b32_e64 v5, v16, v18, s[46:47]                   // 0000000080C0: D1000005 00BA2510
	v_perm_b32 v76, v5, v4, s52                                // 0000000080C8: D1ED004C 00D20905
	v_cmp_u_f32_e64 s[46:47], v90, v90                         // 0000000080D0: D048002E 0002B55A
	v_add3_u32 v16, v90, v19, 1                                // 0000000080D8: D1FF0010 0206275A
	v_cndmask_b32_e64 v4, v16, v18, s[46:47]                   // 0000000080E0: D1000004 00BA2510
	v_cmp_u_f32_e64 s[46:47], v91, v91                         // 0000000080E8: D048002E 0002B75B
	v_add3_u32 v16, v91, v19, 1                                // 0000000080F0: D1FF0010 0206275B
	v_cndmask_b32_e64 v5, v16, v18, s[46:47]                   // 0000000080F8: D1000005 00BA2510
	v_perm_b32 v77, v5, v4, s52                                // 000000008100: D1ED004D 00D20905
	v_cmp_u_f32_e64 s[46:47], v92, v92                         // 000000008108: D048002E 0002B95C
	v_add3_u32 v16, v92, v19, 1                                // 000000008110: D1FF0010 0206275C
	v_cndmask_b32_e64 v4, v16, v18, s[46:47]                   // 000000008118: D1000004 00BA2510
	v_cmp_u_f32_e64 s[46:47], v93, v93                         // 000000008120: D048002E 0002BB5D
	v_add3_u32 v16, v93, v19, 1                                // 000000008128: D1FF0010 0206275D
	v_cndmask_b32_e64 v5, v16, v18, s[46:47]                   // 000000008130: D1000005 00BA2510
	v_perm_b32 v78, v5, v4, s52                                // 000000008138: D1ED004E 00D20905
	v_cmp_u_f32_e64 s[46:47], v94, v94                         // 000000008140: D048002E 0002BD5E
	v_add3_u32 v16, v94, v19, 1                                // 000000008148: D1FF0010 0206275E
	v_cndmask_b32_e64 v4, v16, v18, s[46:47]                   // 000000008150: D1000004 00BA2510
	v_cmp_u_f32_e64 s[46:47], v95, v95                         // 000000008158: D048002E 0002BF5F
	v_add3_u32 v16, v95, v19, 1                                // 000000008160: D1FF0010 0206275F
	v_cndmask_b32_e64 v5, v16, v18, s[46:47]                   // 000000008168: D1000005 00BA2510
	v_perm_b32 v79, v5, v4, s52                                // 000000008170: D1ED004F 00D20905
	v_cmp_u_f32_e64 s[46:47], v96, v96                         // 000000008178: D048002E 0002C160
	v_add3_u32 v16, v96, v19, 1                                // 000000008180: D1FF0010 02062760
	v_cndmask_b32_e64 v4, v16, v18, s[46:47]                   // 000000008188: D1000004 00BA2510
	v_cmp_u_f32_e64 s[46:47], v97, v97                         // 000000008190: D048002E 0002C361
	v_add3_u32 v16, v97, v19, 1                                // 000000008198: D1FF0010 02062761
	v_cndmask_b32_e64 v5, v16, v18, s[46:47]                   // 0000000081A0: D1000005 00BA2510
	v_perm_b32 v80, v5, v4, s52                                // 0000000081A8: D1ED0050 00D20905
	v_cmp_u_f32_e64 s[46:47], v98, v98                         // 0000000081B0: D048002E 0002C562
	v_add3_u32 v16, v98, v19, 1                                // 0000000081B8: D1FF0010 02062762
	v_cndmask_b32_e64 v4, v16, v18, s[46:47]                   // 0000000081C0: D1000004 00BA2510
	v_cmp_u_f32_e64 s[46:47], v99, v99                         // 0000000081C8: D048002E 0002C763
	v_add3_u32 v16, v99, v19, 1                                // 0000000081D0: D1FF0010 02062763
	v_cndmask_b32_e64 v5, v16, v18, s[46:47]                   // 0000000081D8: D1000005 00BA2510
	v_perm_b32 v81, v5, v4, s52                                // 0000000081E0: D1ED0051 00D20905
	v_cmp_u_f32_e64 s[46:47], v100, v100                       // 0000000081E8: D048002E 0002C964
	v_add3_u32 v16, v100, v19, 1                               // 0000000081F0: D1FF0010 02062764
	v_cndmask_b32_e64 v4, v16, v18, s[46:47]                   // 0000000081F8: D1000004 00BA2510
	v_cmp_u_f32_e64 s[46:47], v101, v101                       // 000000008200: D048002E 0002CB65
	v_add3_u32 v16, v101, v19, 1                               // 000000008208: D1FF0010 02062765
	v_cndmask_b32_e64 v5, v16, v18, s[46:47]                   // 000000008210: D1000005 00BA2510
	v_perm_b32 v82, v5, v4, s52                                // 000000008218: D1ED0052 00D20905
	v_cmp_u_f32_e64 s[46:47], v102, v102                       // 000000008220: D048002E 0002CD66
	v_add3_u32 v16, v102, v19, 1                               // 000000008228: D1FF0010 02062766
	v_cndmask_b32_e64 v4, v16, v18, s[46:47]                   // 000000008230: D1000004 00BA2510
	v_cmp_u_f32_e64 s[46:47], v103, v103                       // 000000008238: D048002E 0002CF67
	v_add3_u32 v16, v103, v19, 1                               // 000000008240: D1FF0010 02062767
	v_cndmask_b32_e64 v5, v16, v18, s[46:47]                   // 000000008248: D1000005 00BA2510
	v_perm_b32 v83, v5, v4, s52                                // 000000008250: D1ED0053 00D20905
	v_cmp_u_f32_e64 s[46:47], v104, v104                       // 000000008258: D048002E 0002D168
	v_add3_u32 v16, v104, v19, 1                               // 000000008260: D1FF0010 02062768
	v_cndmask_b32_e64 v4, v16, v18, s[46:47]                   // 000000008268: D1000004 00BA2510
	v_cmp_u_f32_e64 s[46:47], v105, v105                       // 000000008270: D048002E 0002D369
	v_add3_u32 v16, v105, v19, 1                               // 000000008278: D1FF0010 02062769
	v_cndmask_b32_e64 v5, v16, v18, s[46:47]                   // 000000008280: D1000005 00BA2510
	v_perm_b32 v84, v5, v4, s52                                // 000000008288: D1ED0054 00D20905
	v_cmp_u_f32_e64 s[46:47], v106, v106                       // 000000008290: D048002E 0002D56A
	v_add3_u32 v16, v106, v19, 1                               // 000000008298: D1FF0010 0206276A
	v_cndmask_b32_e64 v4, v16, v18, s[46:47]                   // 0000000082A0: D1000004 00BA2510
	v_cmp_u_f32_e64 s[46:47], v107, v107                       // 0000000082A8: D048002E 0002D76B
	v_add3_u32 v16, v107, v19, 1                               // 0000000082B0: D1FF0010 0206276B
	v_cndmask_b32_e64 v5, v16, v18, s[46:47]                   // 0000000082B8: D1000005 00BA2510
	v_perm_b32 v85, v5, v4, s52                                // 0000000082C0: D1ED0055 00D20905
	v_cmp_u_f32_e64 s[46:47], v108, v108                       // 0000000082C8: D048002E 0002D96C
	v_add3_u32 v16, v108, v19, 1                               // 0000000082D0: D1FF0010 0206276C
	v_cndmask_b32_e64 v4, v16, v18, s[46:47]                   // 0000000082D8: D1000004 00BA2510
	v_cmp_u_f32_e64 s[46:47], v109, v109                       // 0000000082E0: D048002E 0002DB6D
	v_add3_u32 v16, v109, v19, 1                               // 0000000082E8: D1FF0010 0206276D
	v_cndmask_b32_e64 v5, v16, v18, s[46:47]                   // 0000000082F0: D1000005 00BA2510
	v_perm_b32 v86, v5, v4, s52                                // 0000000082F8: D1ED0056 00D20905
	v_cmp_u_f32_e64 s[46:47], v110, v110                       // 000000008300: D048002E 0002DD6E
	v_add3_u32 v16, v110, v19, 1                               // 000000008308: D1FF0010 0206276E
	v_cndmask_b32_e64 v4, v16, v18, s[46:47]                   // 000000008310: D1000004 00BA2510
	v_cmp_u_f32_e64 s[46:47], v111, v111                       // 000000008318: D048002E 0002DF6F
	v_add3_u32 v16, v111, v19, 1                               // 000000008320: D1FF0010 0206276F
	v_cndmask_b32_e64 v5, v16, v18, s[46:47]                   // 000000008328: D1000005 00BA2510
	v_perm_b32 v87, v5, v4, s52                                // 000000008330: D1ED0057 00D20905
	v_cmp_u_f32_e64 s[46:47], v112, v112                       // 000000008338: D048002E 0002E170
	v_add3_u32 v16, v112, v19, 1                               // 000000008340: D1FF0010 02062770
	v_cndmask_b32_e64 v4, v16, v18, s[46:47]                   // 000000008348: D1000004 00BA2510
	v_cmp_u_f32_e64 s[46:47], v113, v113                       // 000000008350: D048002E 0002E371
	v_add3_u32 v16, v113, v19, 1                               // 000000008358: D1FF0010 02062771
	v_cndmask_b32_e64 v5, v16, v18, s[46:47]                   // 000000008360: D1000005 00BA2510
	v_perm_b32 v88, v5, v4, s52                                // 000000008368: D1ED0058 00D20905
	v_cmp_u_f32_e64 s[46:47], v114, v114                       // 000000008370: D048002E 0002E572
	v_add3_u32 v16, v114, v19, 1                               // 000000008378: D1FF0010 02062772
	v_cndmask_b32_e64 v4, v16, v18, s[46:47]                   // 000000008380: D1000004 00BA2510
	v_cmp_u_f32_e64 s[46:47], v115, v115                       // 000000008388: D048002E 0002E773
	v_add3_u32 v16, v115, v19, 1                               // 000000008390: D1FF0010 02062773
	v_cndmask_b32_e64 v5, v16, v18, s[46:47]                   // 000000008398: D1000005 00BA2510
	v_perm_b32 v89, v5, v4, s52                                // 0000000083A0: D1ED0059 00D20905
	v_cmp_u_f32_e64 s[46:47], v116, v116                       // 0000000083A8: D048002E 0002E974
	v_add3_u32 v16, v116, v19, 1                               // 0000000083B0: D1FF0010 02062774
	v_cndmask_b32_e64 v4, v16, v18, s[46:47]                   // 0000000083B8: D1000004 00BA2510
	v_cmp_u_f32_e64 s[46:47], v117, v117                       // 0000000083C0: D048002E 0002EB75
	v_add3_u32 v16, v117, v19, 1                               // 0000000083C8: D1FF0010 02062775
	v_cndmask_b32_e64 v5, v16, v18, s[46:47]                   // 0000000083D0: D1000005 00BA2510
	v_perm_b32 v90, v5, v4, s52                                // 0000000083D8: D1ED005A 00D20905
	v_cmp_u_f32_e64 s[46:47], v118, v118                       // 0000000083E0: D048002E 0002ED76
	v_add3_u32 v16, v118, v19, 1                               // 0000000083E8: D1FF0010 02062776
	v_cndmask_b32_e64 v4, v16, v18, s[46:47]                   // 0000000083F0: D1000004 00BA2510
	v_cmp_u_f32_e64 s[46:47], v119, v119                       // 0000000083F8: D048002E 0002EF77
	v_add3_u32 v16, v119, v19, 1                               // 000000008400: D1FF0010 02062777
	v_cndmask_b32_e64 v5, v16, v18, s[46:47]                   // 000000008408: D1000005 00BA2510
	v_perm_b32 v91, v5, v4, s52                                // 000000008410: D1ED005B 00D20905
	v_cmp_u_f32_e64 s[46:47], v120, v120                       // 000000008418: D048002E 0002F178
	v_add3_u32 v16, v120, v19, 1                               // 000000008420: D1FF0010 02062778
	v_cndmask_b32_e64 v4, v16, v18, s[46:47]                   // 000000008428: D1000004 00BA2510
	v_cmp_u_f32_e64 s[46:47], v121, v121                       // 000000008430: D048002E 0002F379
	v_add3_u32 v16, v121, v19, 1                               // 000000008438: D1FF0010 02062779
	v_cndmask_b32_e64 v5, v16, v18, s[46:47]                   // 000000008440: D1000005 00BA2510
	v_perm_b32 v92, v5, v4, s52                                // 000000008448: D1ED005C 00D20905
	v_cmp_u_f32_e64 s[46:47], v122, v122                       // 000000008450: D048002E 0002F57A
	v_add3_u32 v16, v122, v19, 1                               // 000000008458: D1FF0010 0206277A
	v_cndmask_b32_e64 v4, v16, v18, s[46:47]                   // 000000008460: D1000004 00BA2510
	v_cmp_u_f32_e64 s[46:47], v123, v123                       // 000000008468: D048002E 0002F77B
	v_add3_u32 v16, v123, v19, 1                               // 000000008470: D1FF0010 0206277B
	v_cndmask_b32_e64 v5, v16, v18, s[46:47]                   // 000000008478: D1000005 00BA2510
	v_perm_b32 v93, v5, v4, s52                                // 000000008480: D1ED005D 00D20905
	v_cmp_u_f32_e64 s[46:47], v124, v124                       // 000000008488: D048002E 0002F97C
	v_add3_u32 v16, v124, v19, 1                               // 000000008490: D1FF0010 0206277C
	v_cndmask_b32_e64 v4, v16, v18, s[46:47]                   // 000000008498: D1000004 00BA2510
	v_cmp_u_f32_e64 s[46:47], v125, v125                       // 0000000084A0: D048002E 0002FB7D
	v_add3_u32 v16, v125, v19, 1                               // 0000000084A8: D1FF0010 0206277D
	v_cndmask_b32_e64 v5, v16, v18, s[46:47]                   // 0000000084B0: D1000005 00BA2510
	v_perm_b32 v94, v5, v4, s52                                // 0000000084B8: D1ED005E 00D20905
	v_cmp_u_f32_e64 s[46:47], v126, v126                       // 0000000084C0: D048002E 0002FD7E
	v_add3_u32 v16, v126, v19, 1                               // 0000000084C8: D1FF0010 0206277E
	v_cndmask_b32_e64 v4, v16, v18, s[46:47]                   // 0000000084D0: D1000004 00BA2510
	v_cmp_u_f32_e64 s[46:47], v127, v127                       // 0000000084D8: D048002E 0002FF7F
	v_add3_u32 v16, v127, v19, 1                               // 0000000084E0: D1FF0010 0206277F
	v_cndmask_b32_e64 v5, v16, v18, s[46:47]                   // 0000000084E8: D1000005 00BA2510
	v_perm_b32 v95, v5, v4, s52                                // 0000000084F0: D1ED005F 00D20905
	v_cmp_u_f32_e64 s[46:47], v128, v128                       // 0000000084F8: D048002E 00030180
	v_add3_u32 v16, v128, v19, 1                               // 000000008500: D1FF0010 02062780
	v_cndmask_b32_e64 v4, v16, v18, s[46:47]                   // 000000008508: D1000004 00BA2510
	v_cmp_u_f32_e64 s[46:47], v129, v129                       // 000000008510: D048002E 00030381
	v_add3_u32 v16, v129, v19, 1                               // 000000008518: D1FF0010 02062781
	v_cndmask_b32_e64 v5, v16, v18, s[46:47]                   // 000000008520: D1000005 00BA2510
	v_perm_b32 v96, v5, v4, s52                                // 000000008528: D1ED0060 00D20905
	v_cmp_u_f32_e64 s[46:47], v130, v130                       // 000000008530: D048002E 00030582
	v_add3_u32 v16, v130, v19, 1                               // 000000008538: D1FF0010 02062782
	v_cndmask_b32_e64 v4, v16, v18, s[46:47]                   // 000000008540: D1000004 00BA2510
	v_cmp_u_f32_e64 s[46:47], v131, v131                       // 000000008548: D048002E 00030783
	v_add3_u32 v16, v131, v19, 1                               // 000000008550: D1FF0010 02062783
	v_cndmask_b32_e64 v5, v16, v18, s[46:47]                   // 000000008558: D1000005 00BA2510
	v_perm_b32 v97, v5, v4, s52                                // 000000008560: D1ED0061 00D20905
	v_cmp_u_f32_e64 s[46:47], v132, v132                       // 000000008568: D048002E 00030984
	v_add3_u32 v16, v132, v19, 1                               // 000000008570: D1FF0010 02062784
	v_cndmask_b32_e64 v4, v16, v18, s[46:47]                   // 000000008578: D1000004 00BA2510
	v_cmp_u_f32_e64 s[46:47], v133, v133                       // 000000008580: D048002E 00030B85
	v_add3_u32 v16, v133, v19, 1                               // 000000008588: D1FF0010 02062785
	v_cndmask_b32_e64 v5, v16, v18, s[46:47]                   // 000000008590: D1000005 00BA2510
	v_perm_b32 v98, v5, v4, s52                                // 000000008598: D1ED0062 00D20905
	v_cmp_u_f32_e64 s[46:47], v134, v134                       // 0000000085A0: D048002E 00030D86
	v_add3_u32 v16, v134, v19, 1                               // 0000000085A8: D1FF0010 02062786
	v_cndmask_b32_e64 v4, v16, v18, s[46:47]                   // 0000000085B0: D1000004 00BA2510
	v_cmp_u_f32_e64 s[46:47], v135, v135                       // 0000000085B8: D048002E 00030F87
	v_add3_u32 v16, v135, v19, 1                               // 0000000085C0: D1FF0010 02062787
	v_cndmask_b32_e64 v5, v16, v18, s[46:47]                   // 0000000085C8: D1000005 00BA2510
	v_perm_b32 v99, v5, v4, s52                                // 0000000085D0: D1ED0063 00D20905
	v_cmp_u_f32_e64 s[46:47], v136, v136                       // 0000000085D8: D048002E 00031188
	v_add3_u32 v16, v136, v19, 1                               // 0000000085E0: D1FF0010 02062788
	v_cndmask_b32_e64 v4, v16, v18, s[46:47]                   // 0000000085E8: D1000004 00BA2510
	v_cmp_u_f32_e64 s[46:47], v137, v137                       // 0000000085F0: D048002E 00031389
	v_add3_u32 v16, v137, v19, 1                               // 0000000085F8: D1FF0010 02062789
	v_cndmask_b32_e64 v5, v16, v18, s[46:47]                   // 000000008600: D1000005 00BA2510
	v_perm_b32 v100, v5, v4, s52                               // 000000008608: D1ED0064 00D20905
	v_cmp_u_f32_e64 s[46:47], v138, v138                       // 000000008610: D048002E 0003158A
	v_add3_u32 v16, v138, v19, 1                               // 000000008618: D1FF0010 0206278A
	v_cndmask_b32_e64 v4, v16, v18, s[46:47]                   // 000000008620: D1000004 00BA2510
	v_cmp_u_f32_e64 s[46:47], v139, v139                       // 000000008628: D048002E 0003178B
	v_add3_u32 v16, v139, v19, 1                               // 000000008630: D1FF0010 0206278B
	v_cndmask_b32_e64 v5, v16, v18, s[46:47]                   // 000000008638: D1000005 00BA2510
	v_perm_b32 v101, v5, v4, s52                               // 000000008640: D1ED0065 00D20905
	v_cmp_u_f32_e64 s[46:47], v140, v140                       // 000000008648: D048002E 0003198C
	v_add3_u32 v16, v140, v19, 1                               // 000000008650: D1FF0010 0206278C
	v_cndmask_b32_e64 v4, v16, v18, s[46:47]                   // 000000008658: D1000004 00BA2510
	v_cmp_u_f32_e64 s[46:47], v141, v141                       // 000000008660: D048002E 00031B8D
	v_add3_u32 v16, v141, v19, 1                               // 000000008668: D1FF0010 0206278D
	v_cndmask_b32_e64 v5, v16, v18, s[46:47]                   // 000000008670: D1000005 00BA2510
	v_perm_b32 v102, v5, v4, s52                               // 000000008678: D1ED0066 00D20905
	v_cmp_u_f32_e64 s[46:47], v142, v142                       // 000000008680: D048002E 00031D8E
	v_add3_u32 v16, v142, v19, 1                               // 000000008688: D1FF0010 0206278E
	v_cndmask_b32_e64 v4, v16, v18, s[46:47]                   // 000000008690: D1000004 00BA2510
	v_cmp_u_f32_e64 s[46:47], v143, v143                       // 000000008698: D048002E 00031F8F
	v_add3_u32 v16, v143, v19, 1                               // 0000000086A0: D1FF0010 0206278F
	v_cndmask_b32_e64 v5, v16, v18, s[46:47]                   // 0000000086A8: D1000005 00BA2510
	v_perm_b32 v103, v5, v4, s52                               // 0000000086B0: D1ED0067 00D20905
	ds_write_b64 v20, v[64:65]                                 // 0000000086B8: D89A0000 00004014
	ds_write_b64 v20, v[66:67] offset:8704                     // 0000000086C0: D89A2200 00004214
	ds_write_b64 v20, v[68:69] offset:17408                    // 0000000086C8: D89A4400 00004414
	ds_write_b64 v20, v[70:71] offset:26112                    // 0000000086D0: D89A6600 00004614
	ds_write_b64 v20, v[72:73] offset:34816                    // 0000000086D8: D89A8800 00004814
	ds_write_b64 v20, v[74:75] offset:2176                     // 0000000086E0: D89A0880 00004A14
	ds_write_b64 v20, v[76:77] offset:10880                    // 0000000086E8: D89A2A80 00004C14
	ds_write_b64 v20, v[78:79] offset:19584                    // 0000000086F0: D89A4C80 00004E14
	ds_write_b64 v20, v[80:81] offset:28288                    // 0000000086F8: D89A6E80 00005014
	ds_write_b64 v20, v[82:83] offset:36992                    // 000000008700: D89A9080 00005214
	ds_write_b64 v20, v[84:85] offset:4352                     // 000000008708: D89A1100 00005414
	ds_write_b64 v20, v[86:87] offset:13056                    // 000000008710: D89A3300 00005614
	ds_write_b64 v20, v[88:89] offset:21760                    // 000000008718: D89A5500 00005814
	ds_write_b64 v20, v[90:91] offset:30464                    // 000000008720: D89A7700 00005A14
	ds_write_b64 v20, v[92:93] offset:39168                    // 000000008728: D89A9900 00005C14
	ds_write_b64 v20, v[94:95] offset:6528                     // 000000008730: D89A1980 00005E14
	ds_write_b64 v20, v[96:97] offset:15232                    // 000000008738: D89A3B80 00006014
	ds_write_b64 v20, v[98:99] offset:23936                    // 000000008740: D89A5D80 00006214
	ds_write_b64 v20, v[100:101] offset:32640                  // 000000008748: D89A7F80 00006414
	ds_write_b64 v20, v[102:103] offset:41344                  // 000000008750: D89AA180 00006614
	v_lshrrev_b32_e32 v4, 5, v0                                // 000000008758: 20080085
	v_xor_b32_e32 v5, 1, v4                                    // 00000000875C: 2A0A0881
	s_mul_i32 s60, s65, 2                                      // 000000008760: 923C8241
	s_cmp_eq_u32 s88, 0                                        // 000000008764: BF068058
	s_cselect_b32 s61, 1, 4                                    // 000000008768: 853D8481
	s_mul_i32 s60, s61, s60                                    // 00000000876C: 923C3C3D
	v_readlane_b32 s82, v3, 0                                  // 000000008770: D2890052 00010103
	s_lshr_b32 s61, s82, 24                                    // 000000008778: 8F3D9852
	s_and_b32 s82, s82, 0xffffff                               // 00000000877C: 8652FF52 00FFFFFF
	s_mul_i32 s82, s82, s71                                    // 000000008784: 92524752
	s_mul_i32 s61, s60, s61                                    // 000000008788: 923D3D3C
	s_add_u32 s82, s82, s61                                    // 00000000878C: 80523D52
	v_mul_lo_u32 v6, v5, s82                                   // 000000008790: D2850006 0000A505
	v_readlane_b32 s82, v3, 1                                  // 000000008798: D2890052 00010303
	s_lshr_b32 s61, s82, 24                                    // 0000000087A0: 8F3D9852
	s_and_b32 s82, s82, 0xffffff                               // 0000000087A4: 8652FF52 00FFFFFF
	s_mul_i32 s82, s82, s71                                    // 0000000087AC: 92524752
	s_mul_i32 s61, s60, s61                                    // 0000000087B0: 923D3D3C
	s_add_u32 s82, s82, s61                                    // 0000000087B4: 80523D52
	v_mul_lo_u32 v7, v4, s82                                   // 0000000087B8: D2850007 0000A504
	v_add_u32_e32 v50, v6, v7                                  // 0000000087C0: 68640F06
	v_readlane_b32 s82, v3, 2                                  // 0000000087C4: D2890052 00010503
	s_lshr_b32 s61, s82, 24                                    // 0000000087CC: 8F3D9852
	s_and_b32 s82, s82, 0xffffff                               // 0000000087D0: 8652FF52 00FFFFFF
	s_mul_i32 s82, s82, s71                                    // 0000000087D8: 92524752
	s_mul_i32 s61, s60, s61                                    // 0000000087DC: 923D3D3C
	s_add_u32 s82, s82, s61                                    // 0000000087E0: 80523D52
	v_mul_lo_u32 v6, v5, s82                                   // 0000000087E4: D2850006 0000A505
	v_readlane_b32 s82, v3, 3                                  // 0000000087EC: D2890052 00010703
	s_lshr_b32 s61, s82, 24                                    // 0000000087F4: 8F3D9852
	s_and_b32 s82, s82, 0xffffff                               // 0000000087F8: 8652FF52 00FFFFFF
	s_mul_i32 s82, s82, s71                                    // 000000008800: 92524752
	s_mul_i32 s61, s60, s61                                    // 000000008804: 923D3D3C
	s_add_u32 s82, s82, s61                                    // 000000008808: 80523D52
	v_mul_lo_u32 v7, v4, s82                                   // 00000000880C: D2850007 0000A504
	v_add_u32_e32 v51, v6, v7                                  // 000000008814: 68660F06
	v_readlane_b32 s82, v3, 4                                  // 000000008818: D2890052 00010903
	s_lshr_b32 s61, s82, 24                                    // 000000008820: 8F3D9852
	s_and_b32 s82, s82, 0xffffff                               // 000000008824: 8652FF52 00FFFFFF
	s_mul_i32 s82, s82, s71                                    // 00000000882C: 92524752
	s_mul_i32 s61, s60, s61                                    // 000000008830: 923D3D3C
	s_add_u32 s82, s82, s61                                    // 000000008834: 80523D52
	v_mul_lo_u32 v6, v5, s82                                   // 000000008838: D2850006 0000A505
	v_readlane_b32 s82, v3, 5                                  // 000000008840: D2890052 00010B03
	s_lshr_b32 s61, s82, 24                                    // 000000008848: 8F3D9852
	s_and_b32 s82, s82, 0xffffff                               // 00000000884C: 8652FF52 00FFFFFF
	s_mul_i32 s82, s82, s71                                    // 000000008854: 92524752
	s_mul_i32 s61, s60, s61                                    // 000000008858: 923D3D3C
	s_add_u32 s82, s82, s61                                    // 00000000885C: 80523D52
	v_mul_lo_u32 v7, v4, s82                                   // 000000008860: D2850007 0000A504
	v_add_u32_e32 v52, v6, v7                                  // 000000008868: 68680F06
	v_readlane_b32 s82, v3, 6                                  // 00000000886C: D2890052 00010D03
	s_lshr_b32 s61, s82, 24                                    // 000000008874: 8F3D9852
	s_and_b32 s82, s82, 0xffffff                               // 000000008878: 8652FF52 00FFFFFF
	s_mul_i32 s82, s82, s71                                    // 000000008880: 92524752
	s_mul_i32 s61, s60, s61                                    // 000000008884: 923D3D3C
	s_add_u32 s82, s82, s61                                    // 000000008888: 80523D52
	v_mul_lo_u32 v6, v5, s82                                   // 00000000888C: D2850006 0000A505
	v_readlane_b32 s82, v3, 7                                  // 000000008894: D2890052 00010F03
	s_lshr_b32 s61, s82, 24                                    // 00000000889C: 8F3D9852
	s_and_b32 s82, s82, 0xffffff                               // 0000000088A0: 8652FF52 00FFFFFF
	s_mul_i32 s82, s82, s71                                    // 0000000088A8: 92524752
	s_mul_i32 s61, s60, s61                                    // 0000000088AC: 923D3D3C
	s_add_u32 s82, s82, s61                                    // 0000000088B0: 80523D52
	v_mul_lo_u32 v7, v4, s82                                   // 0000000088B4: D2850007 0000A504
	v_add_u32_e32 v53, v6, v7                                  // 0000000088BC: 686A0F06
	v_readlane_b32 s82, v3, 8                                  // 0000000088C0: D2890052 00011103
	s_lshr_b32 s61, s82, 24                                    // 0000000088C8: 8F3D9852
	s_and_b32 s82, s82, 0xffffff                               // 0000000088CC: 8652FF52 00FFFFFF
	s_mul_i32 s82, s82, s71                                    // 0000000088D4: 92524752
	s_mul_i32 s61, s60, s61                                    // 0000000088D8: 923D3D3C
	s_add_u32 s82, s82, s61                                    // 0000000088DC: 80523D52
	v_mul_lo_u32 v6, v5, s82                                   // 0000000088E0: D2850006 0000A505
	v_readlane_b32 s82, v3, 9                                  // 0000000088E8: D2890052 00011303
	s_lshr_b32 s61, s82, 24                                    // 0000000088F0: 8F3D9852
	s_and_b32 s82, s82, 0xffffff                               // 0000000088F4: 8652FF52 00FFFFFF
	s_mul_i32 s82, s82, s71                                    // 0000000088FC: 92524752
	s_mul_i32 s61, s60, s61                                    // 000000008900: 923D3D3C
	s_add_u32 s82, s82, s61                                    // 000000008904: 80523D52
	v_mul_lo_u32 v7, v4, s82                                   // 000000008908: D2850007 0000A504
	v_add_u32_e32 v54, v6, v7                                  // 000000008910: 686C0F06
	v_readlane_b32 s82, v3, 10                                 // 000000008914: D2890052 00011503
	s_lshr_b32 s61, s82, 24                                    // 00000000891C: 8F3D9852
	s_and_b32 s82, s82, 0xffffff                               // 000000008920: 8652FF52 00FFFFFF
	s_mul_i32 s82, s82, s71                                    // 000000008928: 92524752
	s_mul_i32 s61, s60, s61                                    // 00000000892C: 923D3D3C
	s_add_u32 s82, s82, s61                                    // 000000008930: 80523D52
	v_mul_lo_u32 v6, v5, s82                                   // 000000008934: D2850006 0000A505
	v_readlane_b32 s82, v3, 11                                 // 00000000893C: D2890052 00011703
	s_lshr_b32 s61, s82, 24                                    // 000000008944: 8F3D9852
	s_and_b32 s82, s82, 0xffffff                               // 000000008948: 8652FF52 00FFFFFF
	s_mul_i32 s82, s82, s71                                    // 000000008950: 92524752
	s_mul_i32 s61, s60, s61                                    // 000000008954: 923D3D3C
	s_add_u32 s82, s82, s61                                    // 000000008958: 80523D52
	v_mul_lo_u32 v7, v4, s82                                   // 00000000895C: D2850007 0000A504
	v_add_u32_e32 v55, v6, v7                                  // 000000008964: 686E0F06
	v_readlane_b32 s82, v3, 12                                 // 000000008968: D2890052 00011903
	s_lshr_b32 s61, s82, 24                                    // 000000008970: 8F3D9852
	s_and_b32 s82, s82, 0xffffff                               // 000000008974: 8652FF52 00FFFFFF
	s_mul_i32 s82, s82, s71                                    // 00000000897C: 92524752
	s_mul_i32 s61, s60, s61                                    // 000000008980: 923D3D3C
	s_add_u32 s82, s82, s61                                    // 000000008984: 80523D52
	v_mul_lo_u32 v6, v5, s82                                   // 000000008988: D2850006 0000A505
	v_readlane_b32 s82, v3, 13                                 // 000000008990: D2890052 00011B03
	s_lshr_b32 s61, s82, 24                                    // 000000008998: 8F3D9852
	s_and_b32 s82, s82, 0xffffff                               // 00000000899C: 8652FF52 00FFFFFF
	s_mul_i32 s82, s82, s71                                    // 0000000089A4: 92524752
	s_mul_i32 s61, s60, s61                                    // 0000000089A8: 923D3D3C
	s_add_u32 s82, s82, s61                                    // 0000000089AC: 80523D52
	v_mul_lo_u32 v7, v4, s82                                   // 0000000089B0: D2850007 0000A504
	v_add_u32_e32 v56, v6, v7                                  // 0000000089B8: 68700F06
	v_readlane_b32 s82, v3, 14                                 // 0000000089BC: D2890052 00011D03
	s_lshr_b32 s61, s82, 24                                    // 0000000089C4: 8F3D9852
	s_and_b32 s82, s82, 0xffffff                               // 0000000089C8: 8652FF52 00FFFFFF
	s_mul_i32 s82, s82, s71                                    // 0000000089D0: 92524752
	s_mul_i32 s61, s60, s61                                    // 0000000089D4: 923D3D3C
	s_add_u32 s82, s82, s61                                    // 0000000089D8: 80523D52
	v_mul_lo_u32 v6, v5, s82                                   // 0000000089DC: D2850006 0000A505
	v_readlane_b32 s82, v3, 15                                 // 0000000089E4: D2890052 00011F03
	s_lshr_b32 s61, s82, 24                                    // 0000000089EC: 8F3D9852
	s_and_b32 s82, s82, 0xffffff                               // 0000000089F0: 8652FF52 00FFFFFF
	s_mul_i32 s82, s82, s71                                    // 0000000089F8: 92524752
	s_mul_i32 s61, s60, s61                                    // 0000000089FC: 923D3D3C
	s_add_u32 s82, s82, s61                                    // 000000008A00: 80523D52
	v_mul_lo_u32 v7, v4, s82                                   // 000000008A04: D2850007 0000A504
	v_add_u32_e32 v57, v6, v7                                  // 000000008A0C: 68720F06
	v_readlane_b32 s82, v3, 16                                 // 000000008A10: D2890052 00012103
	s_lshr_b32 s61, s82, 24                                    // 000000008A18: 8F3D9852
	s_and_b32 s82, s82, 0xffffff                               // 000000008A1C: 8652FF52 00FFFFFF
	s_mul_i32 s82, s82, s71                                    // 000000008A24: 92524752
	s_mul_i32 s61, s60, s61                                    // 000000008A28: 923D3D3C
	s_add_u32 s82, s82, s61                                    // 000000008A2C: 80523D52
	v_mul_lo_u32 v6, v5, s82                                   // 000000008A30: D2850006 0000A505
	v_readlane_b32 s82, v3, 17                                 // 000000008A38: D2890052 00012303
	s_lshr_b32 s61, s82, 24                                    // 000000008A40: 8F3D9852
	s_and_b32 s82, s82, 0xffffff                               // 000000008A44: 8652FF52 00FFFFFF
	s_mul_i32 s82, s82, s71                                    // 000000008A4C: 92524752
	s_mul_i32 s61, s60, s61                                    // 000000008A50: 923D3D3C
	s_add_u32 s82, s82, s61                                    // 000000008A54: 80523D52
	v_mul_lo_u32 v7, v4, s82                                   // 000000008A58: D2850007 0000A504
	v_add_u32_e32 v58, v6, v7                                  // 000000008A60: 68740F06
	v_readlane_b32 s82, v3, 18                                 // 000000008A64: D2890052 00012503
	s_lshr_b32 s61, s82, 24                                    // 000000008A6C: 8F3D9852
	s_and_b32 s82, s82, 0xffffff                               // 000000008A70: 8652FF52 00FFFFFF
	s_mul_i32 s82, s82, s71                                    // 000000008A78: 92524752
	s_mul_i32 s61, s60, s61                                    // 000000008A7C: 923D3D3C
	s_add_u32 s82, s82, s61                                    // 000000008A80: 80523D52
	v_mul_lo_u32 v6, v5, s82                                   // 000000008A84: D2850006 0000A505
	v_readlane_b32 s82, v3, 19                                 // 000000008A8C: D2890052 00012703
	s_lshr_b32 s61, s82, 24                                    // 000000008A94: 8F3D9852
	s_and_b32 s82, s82, 0xffffff                               // 000000008A98: 8652FF52 00FFFFFF
	s_mul_i32 s82, s82, s71                                    // 000000008AA0: 92524752
	s_mul_i32 s61, s60, s61                                    // 000000008AA4: 923D3D3C
	s_add_u32 s82, s82, s61                                    // 000000008AA8: 80523D52
	v_mul_lo_u32 v7, v4, s82                                   // 000000008AAC: D2850007 0000A504
	v_add_u32_e32 v59, v6, v7                                  // 000000008AB4: 68760F06
	v_and_b32_e32 v4, 31, v0                                   // 000000008AB8: 2608009F
	v_lshrrev_b32_e32 v4, 1, v4                                // 000000008ABC: 20080881
	s_cmp_eq_u32 s88, 0                                        // 000000008AC0: BF068058
	s_cselect_b32 s61, 2, 4                                    // 000000008AC4: 853D8482
	v_mul_lo_u32 v4, v4, s61                                   // 000000008AC8: D2850004 00007B04
	v_and_b32_e64 v5, v0, 1                                    // 000000008AD0: D1130005 00010300
	v_add_u32_e32 v4, v4, v5                                   // 000000008AD8: 68080B04
	v_lshlrev_b32_e32 v4, 2, v4                                // 000000008ADC: 24080882
	v_add_u32_e32 v50, v50, v4                                 // 000000008AE0: 68640932
	v_add_u32_e32 v51, v51, v4                                 // 000000008AE4: 68660933
	v_add_u32_e32 v52, v52, v4                                 // 000000008AE8: 68680934
	v_add_u32_e32 v53, v53, v4                                 // 000000008AEC: 686A0935
	v_add_u32_e32 v54, v54, v4                                 // 000000008AF0: 686C0936
	v_add_u32_e32 v55, v55, v4                                 // 000000008AF4: 686E0937
	v_add_u32_e32 v56, v56, v4                                 // 000000008AF8: 68700938
	v_add_u32_e32 v57, v57, v4                                 // 000000008AFC: 68720939
	v_add_u32_e32 v58, v58, v4                                 // 000000008B00: 6874093A
	v_add_u32_e32 v59, v59, v4                                 // 000000008B04: 6876093B
	s_waitcnt lgkmcnt(0)                                       // 000000008B08: BF8CC07F
	s_barrier                                                  // 000000008B0C: BF8A0000
	ds_read_b32 v64, v21                                       // 000000008B10: D86C0000 40000015
	ds_read_b32 v65, v21 offset:64                             // 000000008B18: D86C0040 41000015
	ds_read_b32 v66, v21 offset:2176                           // 000000008B20: D86C0880 42000015
	ds_read_b32 v67, v21 offset:2240                           // 000000008B28: D86C08C0 43000015
	ds_read_b32 v68, v21 offset:4352                           // 000000008B30: D86C1100 44000015
	ds_read_b32 v69, v21 offset:4416                           // 000000008B38: D86C1140 45000015
	ds_read_b32 v70, v21 offset:6528                           // 000000008B40: D86C1980 46000015
	ds_read_b32 v71, v21 offset:6592                           // 000000008B48: D86C19C0 47000015
	ds_read_b32 v72, v21 offset:8704                           // 000000008B50: D86C2200 48000015
	ds_read_b32 v73, v21 offset:8768                           // 000000008B58: D86C2240 49000015
	ds_read_b32 v74, v21 offset:10880                          // 000000008B60: D86C2A80 4A000015
	ds_read_b32 v75, v21 offset:10944                          // 000000008B68: D86C2AC0 4B000015
	ds_read_b32 v76, v21 offset:13056                          // 000000008B70: D86C3300 4C000015
	ds_read_b32 v77, v21 offset:13120                          // 000000008B78: D86C3340 4D000015
	ds_read_b32 v78, v21 offset:15232                          // 000000008B80: D86C3B80 4E000015
	ds_read_b32 v79, v21 offset:15296                          // 000000008B88: D86C3BC0 4F000015
	ds_read_b32 v80, v21 offset:17408                          // 000000008B90: D86C4400 50000015
	ds_read_b32 v81, v21 offset:17472                          // 000000008B98: D86C4440 51000015
	ds_read_b32 v82, v21 offset:19584                          // 000000008BA0: D86C4C80 52000015
	ds_read_b32 v83, v21 offset:19648                          // 000000008BA8: D86C4CC0 53000015
	ds_read_b32 v84, v21 offset:21760                          // 000000008BB0: D86C5500 54000015
	ds_read_b32 v85, v21 offset:21824                          // 000000008BB8: D86C5540 55000015
	ds_read_b32 v86, v21 offset:23936                          // 000000008BC0: D86C5D80 56000015
	ds_read_b32 v87, v21 offset:24000                          // 000000008BC8: D86C5DC0 57000015
	ds_read_b32 v88, v21 offset:26112                          // 000000008BD0: D86C6600 58000015
	ds_read_b32 v89, v21 offset:26176                          // 000000008BD8: D86C6640 59000015
	ds_read_b32 v90, v21 offset:28288                          // 000000008BE0: D86C6E80 5A000015
	ds_read_b32 v91, v21 offset:28352                          // 000000008BE8: D86C6EC0 5B000015
	ds_read_b32 v92, v21 offset:30464                          // 000000008BF0: D86C7700 5C000015
	ds_read_b32 v93, v21 offset:30528                          // 000000008BF8: D86C7740 5D000015
	ds_read_b32 v94, v21 offset:32640                          // 000000008C00: D86C7F80 5E000015
	ds_read_b32 v95, v21 offset:32704                          // 000000008C08: D86C7FC0 5F000015
	ds_read_b32 v96, v21 offset:34816                          // 000000008C10: D86C8800 60000015
	ds_read_b32 v97, v21 offset:34880                          // 000000008C18: D86C8840 61000015
	ds_read_b32 v98, v21 offset:36992                          // 000000008C20: D86C9080 62000015
	ds_read_b32 v99, v21 offset:37056                          // 000000008C28: D86C90C0 63000015
	ds_read_b32 v100, v21 offset:39168                         // 000000008C30: D86C9900 64000015
	ds_read_b32 v101, v21 offset:39232                         // 000000008C38: D86C9940 65000015
	ds_read_b32 v102, v21 offset:41344                         // 000000008C40: D86CA180 66000015
	ds_read_b32 v103, v21 offset:41408                         // 000000008C48: D86CA1C0 67000015
	s_waitcnt lgkmcnt(0)                                       // 000000008C50: BF8CC07F
	s_mov_b32 s36, -1                                          // 000000008C54: BEA400C1
	s_mov_b32 s37, -1                                          // 000000008C58: BEA500C1
	v_mov_b32_e32 v7, 0                                        // 000000008C5C: 7E0E0280
	s_or_b32 s9, s9, 0x40000                                   // 000000008C60: 8709FF09 00040000
	s_mov_b64 exec, s[36:37]                                   // 000000008C68: BEFE0124
	v_mov_b32_e32 v6, v50                                      // 000000008C6C: 7E0C0332
	s_mov_b64 s[60:61], 0                                      // 000000008C70: BEBC0180
	v_readlane_b32 s82, v3, 0                                  // 000000008C74: D2890052 00010103
	s_and_b32 s82, s82, 0xffffff                               // 000000008C7C: 8652FF52 00FFFFFF
	s_cmp_lt_u32 s82, s66                                      // 000000008C84: BF0A4252
	s_cselect_b32 s20, s36, s60                                // 000000008C88: 85143C24
	v_readlane_b32 s82, v3, 1                                  // 000000008C8C: D2890052 00010303
	s_and_b32 s82, s82, 0xffffff                               // 000000008C94: 8652FF52 00FFFFFF
	s_cmp_lt_u32 s82, s66                                      // 000000008C9C: BF0A4252
	s_cselect_b32 s21, s36, s60                                // 000000008CA0: 85153C24
	s_mov_b64 exec, s[20:21]                                   // 000000008CA4: BEFE0114
	buffer_store_dword v64, v6, s[8:11], 0 offen               // 000000008CA8: E0701000 80024006
	buffer_store_dword v66, v6, s[8:11], 0 offen offset:128    // 000000008CB0: E0701080 80024206
	buffer_store_dword v68, v6, s[8:11], 0 offen offset:256    // 000000008CB8: E0701100 80024406
	buffer_store_dword v70, v6, s[8:11], 0 offen offset:384    // 000000008CC0: E0701180 80024606
	s_mov_b64 exec, s[36:37]                                   // 000000008CC8: BEFE0124
	v_mov_b32_e32 v6, v51                                      // 000000008CCC: 7E0C0333
	s_mov_b64 s[60:61], 0                                      // 000000008CD0: BEBC0180
	v_readlane_b32 s82, v3, 2                                  // 000000008CD4: D2890052 00010503
	s_and_b32 s82, s82, 0xffffff                               // 000000008CDC: 8652FF52 00FFFFFF
	s_cmp_lt_u32 s82, s66                                      // 000000008CE4: BF0A4252
	s_cselect_b32 s20, s36, s60                                // 000000008CE8: 85143C24
	v_readlane_b32 s82, v3, 3                                  // 000000008CEC: D2890052 00010703
	s_and_b32 s82, s82, 0xffffff                               // 000000008CF4: 8652FF52 00FFFFFF
	s_cmp_lt_u32 s82, s66                                      // 000000008CFC: BF0A4252
	s_cselect_b32 s21, s36, s60                                // 000000008D00: 85153C24
	s_mov_b64 exec, s[20:21]                                   // 000000008D04: BEFE0114
	buffer_store_dword v65, v6, s[8:11], 0 offen               // 000000008D08: E0701000 80024106
	buffer_store_dword v67, v6, s[8:11], 0 offen offset:128    // 000000008D10: E0701080 80024306
	buffer_store_dword v69, v6, s[8:11], 0 offen offset:256    // 000000008D18: E0701100 80024506
	buffer_store_dword v71, v6, s[8:11], 0 offen offset:384    // 000000008D20: E0701180 80024706
	s_mov_b64 exec, s[36:37]                                   // 000000008D28: BEFE0124
	v_mov_b32_e32 v6, v52                                      // 000000008D2C: 7E0C0334
	s_mov_b64 s[60:61], 0                                      // 000000008D30: BEBC0180
	v_readlane_b32 s82, v3, 4                                  // 000000008D34: D2890052 00010903
	s_and_b32 s82, s82, 0xffffff                               // 000000008D3C: 8652FF52 00FFFFFF
	s_cmp_lt_u32 s82, s66                                      // 000000008D44: BF0A4252
	s_cselect_b32 s20, s36, s60                                // 000000008D48: 85143C24
	v_readlane_b32 s82, v3, 5                                  // 000000008D4C: D2890052 00010B03
	s_and_b32 s82, s82, 0xffffff                               // 000000008D54: 8652FF52 00FFFFFF
	s_cmp_lt_u32 s82, s66                                      // 000000008D5C: BF0A4252
	s_cselect_b32 s21, s36, s60                                // 000000008D60: 85153C24
	s_mov_b64 exec, s[20:21]                                   // 000000008D64: BEFE0114
	buffer_store_dword v72, v6, s[8:11], 0 offen               // 000000008D68: E0701000 80024806
	buffer_store_dword v74, v6, s[8:11], 0 offen offset:128    // 000000008D70: E0701080 80024A06
	buffer_store_dword v76, v6, s[8:11], 0 offen offset:256    // 000000008D78: E0701100 80024C06
	buffer_store_dword v78, v6, s[8:11], 0 offen offset:384    // 000000008D80: E0701180 80024E06
	s_mov_b64 exec, s[36:37]                                   // 000000008D88: BEFE0124
	v_mov_b32_e32 v6, v53                                      // 000000008D8C: 7E0C0335
	s_mov_b64 s[60:61], 0                                      // 000000008D90: BEBC0180
	v_readlane_b32 s82, v3, 6                                  // 000000008D94: D2890052 00010D03
	s_and_b32 s82, s82, 0xffffff                               // 000000008D9C: 8652FF52 00FFFFFF
	s_cmp_lt_u32 s82, s66                                      // 000000008DA4: BF0A4252
	s_cselect_b32 s20, s36, s60                                // 000000008DA8: 85143C24
	v_readlane_b32 s82, v3, 7                                  // 000000008DAC: D2890052 00010F03
	s_and_b32 s82, s82, 0xffffff                               // 000000008DB4: 8652FF52 00FFFFFF
	s_cmp_lt_u32 s82, s66                                      // 000000008DBC: BF0A4252
	s_cselect_b32 s21, s36, s60                                // 000000008DC0: 85153C24
	s_mov_b64 exec, s[20:21]                                   // 000000008DC4: BEFE0114
	buffer_store_dword v73, v6, s[8:11], 0 offen               // 000000008DC8: E0701000 80024906
	buffer_store_dword v75, v6, s[8:11], 0 offen offset:128    // 000000008DD0: E0701080 80024B06
	buffer_store_dword v77, v6, s[8:11], 0 offen offset:256    // 000000008DD8: E0701100 80024D06
	buffer_store_dword v79, v6, s[8:11], 0 offen offset:384    // 000000008DE0: E0701180 80024F06
	s_mov_b64 exec, s[36:37]                                   // 000000008DE8: BEFE0124
	v_mov_b32_e32 v6, v54                                      // 000000008DEC: 7E0C0336
	s_mov_b64 s[60:61], 0                                      // 000000008DF0: BEBC0180
	v_readlane_b32 s82, v3, 8                                  // 000000008DF4: D2890052 00011103
	s_and_b32 s82, s82, 0xffffff                               // 000000008DFC: 8652FF52 00FFFFFF
	s_cmp_lt_u32 s82, s66                                      // 000000008E04: BF0A4252
	s_cselect_b32 s20, s36, s60                                // 000000008E08: 85143C24
	v_readlane_b32 s82, v3, 9                                  // 000000008E0C: D2890052 00011303
	s_and_b32 s82, s82, 0xffffff                               // 000000008E14: 8652FF52 00FFFFFF
	s_cmp_lt_u32 s82, s66                                      // 000000008E1C: BF0A4252
	s_cselect_b32 s21, s36, s60                                // 000000008E20: 85153C24
	s_mov_b64 exec, s[20:21]                                   // 000000008E24: BEFE0114
	buffer_store_dword v80, v6, s[8:11], 0 offen               // 000000008E28: E0701000 80025006
	buffer_store_dword v82, v6, s[8:11], 0 offen offset:128    // 000000008E30: E0701080 80025206
	buffer_store_dword v84, v6, s[8:11], 0 offen offset:256    // 000000008E38: E0701100 80025406
	buffer_store_dword v86, v6, s[8:11], 0 offen offset:384    // 000000008E40: E0701180 80025606
	s_mov_b64 exec, s[36:37]                                   // 000000008E48: BEFE0124
	v_mov_b32_e32 v6, v55                                      // 000000008E4C: 7E0C0337
	s_mov_b64 s[60:61], 0                                      // 000000008E50: BEBC0180
	v_readlane_b32 s82, v3, 10                                 // 000000008E54: D2890052 00011503
	s_and_b32 s82, s82, 0xffffff                               // 000000008E5C: 8652FF52 00FFFFFF
	s_cmp_lt_u32 s82, s66                                      // 000000008E64: BF0A4252
	s_cselect_b32 s20, s36, s60                                // 000000008E68: 85143C24
	v_readlane_b32 s82, v3, 11                                 // 000000008E6C: D2890052 00011703
	s_and_b32 s82, s82, 0xffffff                               // 000000008E74: 8652FF52 00FFFFFF
	s_cmp_lt_u32 s82, s66                                      // 000000008E7C: BF0A4252
	s_cselect_b32 s21, s36, s60                                // 000000008E80: 85153C24
	s_mov_b64 exec, s[20:21]                                   // 000000008E84: BEFE0114
	buffer_store_dword v81, v6, s[8:11], 0 offen               // 000000008E88: E0701000 80025106
	buffer_store_dword v83, v6, s[8:11], 0 offen offset:128    // 000000008E90: E0701080 80025306
	buffer_store_dword v85, v6, s[8:11], 0 offen offset:256    // 000000008E98: E0701100 80025506
	buffer_store_dword v87, v6, s[8:11], 0 offen offset:384    // 000000008EA0: E0701180 80025706
	s_mov_b64 exec, s[36:37]                                   // 000000008EA8: BEFE0124
	v_mov_b32_e32 v6, v56                                      // 000000008EAC: 7E0C0338
	s_mov_b64 s[60:61], 0                                      // 000000008EB0: BEBC0180
	v_readlane_b32 s82, v3, 12                                 // 000000008EB4: D2890052 00011903
	s_and_b32 s82, s82, 0xffffff                               // 000000008EBC: 8652FF52 00FFFFFF
	s_cmp_lt_u32 s82, s66                                      // 000000008EC4: BF0A4252
	s_cselect_b32 s20, s36, s60                                // 000000008EC8: 85143C24
	v_readlane_b32 s82, v3, 13                                 // 000000008ECC: D2890052 00011B03
	s_and_b32 s82, s82, 0xffffff                               // 000000008ED4: 8652FF52 00FFFFFF
	s_cmp_lt_u32 s82, s66                                      // 000000008EDC: BF0A4252
	s_cselect_b32 s21, s36, s60                                // 000000008EE0: 85153C24
	s_mov_b64 exec, s[20:21]                                   // 000000008EE4: BEFE0114
	buffer_store_dword v88, v6, s[8:11], 0 offen               // 000000008EE8: E0701000 80025806
	buffer_store_dword v90, v6, s[8:11], 0 offen offset:128    // 000000008EF0: E0701080 80025A06
	buffer_store_dword v92, v6, s[8:11], 0 offen offset:256    // 000000008EF8: E0701100 80025C06
	buffer_store_dword v94, v6, s[8:11], 0 offen offset:384    // 000000008F00: E0701180 80025E06
	s_mov_b64 exec, s[36:37]                                   // 000000008F08: BEFE0124
	v_mov_b32_e32 v6, v57                                      // 000000008F0C: 7E0C0339
	s_mov_b64 s[60:61], 0                                      // 000000008F10: BEBC0180
	v_readlane_b32 s82, v3, 14                                 // 000000008F14: D2890052 00011D03
	s_and_b32 s82, s82, 0xffffff                               // 000000008F1C: 8652FF52 00FFFFFF
	s_cmp_lt_u32 s82, s66                                      // 000000008F24: BF0A4252
	s_cselect_b32 s20, s36, s60                                // 000000008F28: 85143C24
	v_readlane_b32 s82, v3, 15                                 // 000000008F2C: D2890052 00011F03
	s_and_b32 s82, s82, 0xffffff                               // 000000008F34: 8652FF52 00FFFFFF
	s_cmp_lt_u32 s82, s66                                      // 000000008F3C: BF0A4252
	s_cselect_b32 s21, s36, s60                                // 000000008F40: 85153C24
	s_mov_b64 exec, s[20:21]                                   // 000000008F44: BEFE0114
	buffer_store_dword v89, v6, s[8:11], 0 offen               // 000000008F48: E0701000 80025906
	buffer_store_dword v91, v6, s[8:11], 0 offen offset:128    // 000000008F50: E0701080 80025B06
	buffer_store_dword v93, v6, s[8:11], 0 offen offset:256    // 000000008F58: E0701100 80025D06
	buffer_store_dword v95, v6, s[8:11], 0 offen offset:384    // 000000008F60: E0701180 80025F06
	s_mov_b64 exec, s[36:37]                                   // 000000008F68: BEFE0124
	v_mov_b32_e32 v6, v58                                      // 000000008F6C: 7E0C033A
	s_mov_b64 s[60:61], 0                                      // 000000008F70: BEBC0180
	v_readlane_b32 s82, v3, 16                                 // 000000008F74: D2890052 00012103
	s_and_b32 s82, s82, 0xffffff                               // 000000008F7C: 8652FF52 00FFFFFF
	s_cmp_lt_u32 s82, s66                                      // 000000008F84: BF0A4252
	s_cselect_b32 s20, s36, s60                                // 000000008F88: 85143C24
	v_readlane_b32 s82, v3, 17                                 // 000000008F8C: D2890052 00012303
	s_and_b32 s82, s82, 0xffffff                               // 000000008F94: 8652FF52 00FFFFFF
	s_cmp_lt_u32 s82, s66                                      // 000000008F9C: BF0A4252
	s_cselect_b32 s21, s36, s60                                // 000000008FA0: 85153C24
	s_mov_b64 exec, s[20:21]                                   // 000000008FA4: BEFE0114
	buffer_store_dword v96, v6, s[8:11], 0 offen               // 000000008FA8: E0701000 80026006
	buffer_store_dword v98, v6, s[8:11], 0 offen offset:128    // 000000008FB0: E0701080 80026206
	buffer_store_dword v100, v6, s[8:11], 0 offen offset:256   // 000000008FB8: E0701100 80026406
	buffer_store_dword v102, v6, s[8:11], 0 offen offset:384   // 000000008FC0: E0701180 80026606
	s_mov_b64 exec, s[36:37]                                   // 000000008FC8: BEFE0124
	v_mov_b32_e32 v6, v59                                      // 000000008FCC: 7E0C033B
	s_mov_b64 s[60:61], 0                                      // 000000008FD0: BEBC0180
	v_readlane_b32 s82, v3, 18                                 // 000000008FD4: D2890052 00012503
	s_and_b32 s82, s82, 0xffffff                               // 000000008FDC: 8652FF52 00FFFFFF
	s_cmp_lt_u32 s82, s66                                      // 000000008FE4: BF0A4252
	s_cselect_b32 s20, s36, s60                                // 000000008FE8: 85143C24
	v_readlane_b32 s82, v3, 19                                 // 000000008FEC: D2890052 00012703
	s_and_b32 s82, s82, 0xffffff                               // 000000008FF4: 8652FF52 00FFFFFF
	s_cmp_lt_u32 s82, s66                                      // 000000008FFC: BF0A4252
	s_cselect_b32 s21, s36, s60                                // 000000009000: 85153C24
	s_mov_b64 exec, s[20:21]                                   // 000000009004: BEFE0114
	buffer_store_dword v97, v6, s[8:11], 0 offen               // 000000009008: E0701000 80026106
	buffer_store_dword v99, v6, s[8:11], 0 offen offset:128    // 000000009010: E0701080 80026306
	buffer_store_dword v101, v6, s[8:11], 0 offen offset:256   // 000000009018: E0701100 80026506
	buffer_store_dword v103, v6, s[8:11], 0 offen offset:384   // 000000009020: E0701180 80026706
	s_mov_b64 exec, s[36:37]                                   // 000000009028: BEFE0124
	s_branch label_3D34                                        // 00000000902C: BF8223A5

0000000000009030 <label_198C>:
	ds_write_b64 v20, v[64:65]                                 // 000000009030: D89A0000 00004014
	ds_write_b64 v20, v[68:69] offset:8704                     // 000000009038: D89A2200 00004414
	ds_write_b64 v20, v[72:73] offset:17408                    // 000000009040: D89A4400 00004814
	ds_write_b64 v20, v[76:77] offset:26112                    // 000000009048: D89A6600 00004C14
	ds_write_b64 v20, v[80:81] offset:34816                    // 000000009050: D89A8800 00005014
	ds_write_b64 v20, v[84:85] offset:2176                     // 000000009058: D89A0880 00005414
	ds_write_b64 v20, v[88:89] offset:10880                    // 000000009060: D89A2A80 00005814
	ds_write_b64 v20, v[92:93] offset:19584                    // 000000009068: D89A4C80 00005C14
	ds_write_b64 v20, v[96:97] offset:28288                    // 000000009070: D89A6E80 00006014
	ds_write_b64 v20, v[100:101] offset:36992                  // 000000009078: D89A9080 00006414
	ds_write_b64 v20, v[104:105] offset:4352                   // 000000009080: D89A1100 00006814
	ds_write_b64 v20, v[108:109] offset:13056                  // 000000009088: D89A3300 00006C14
	ds_write_b64 v20, v[112:113] offset:21760                  // 000000009090: D89A5500 00007014
	ds_write_b64 v20, v[116:117] offset:30464                  // 000000009098: D89A7700 00007414
	ds_write_b64 v20, v[120:121] offset:39168                  // 0000000090A0: D89A9900 00007814
	ds_write_b64 v20, v[124:125] offset:6528                   // 0000000090A8: D89A1980 00007C14
	ds_write_b64 v20, v[128:129] offset:15232                  // 0000000090B0: D89A3B80 00008014
	ds_write_b64 v20, v[132:133] offset:23936                  // 0000000090B8: D89A5D80 00008414
	ds_write_b64 v20, v[136:137] offset:32640                  // 0000000090C0: D89A7F80 00008814
	ds_write_b64 v20, v[140:141] offset:41344                  // 0000000090C8: D89AA180 00008C14
	v_lshrrev_b32_e32 v4, 5, v0                                // 0000000090D0: 20080085
	v_xor_b32_e32 v5, 1, v4                                    // 0000000090D4: 2A0A0881
	s_mul_i32 s60, s65, 2                                      // 0000000090D8: 923C8241
	s_cmp_eq_u32 s88, 0                                        // 0000000090DC: BF068058
	s_cselect_b32 s61, 1, 4                                    // 0000000090E0: 853D8481
	s_mul_i32 s60, s61, s60                                    // 0000000090E4: 923C3C3D
	v_readlane_b32 s82, v3, 0                                  // 0000000090E8: D2890052 00010103
	s_lshr_b32 s61, s82, 24                                    // 0000000090F0: 8F3D9852
	s_and_b32 s82, s82, 0xffffff                               // 0000000090F4: 8652FF52 00FFFFFF
	s_mul_i32 s82, s82, s71                                    // 0000000090FC: 92524752
	s_mul_i32 s61, s60, s61                                    // 000000009100: 923D3D3C
	s_add_u32 s82, s82, s61                                    // 000000009104: 80523D52
	v_mul_lo_u32 v6, v5, s82                                   // 000000009108: D2850006 0000A505
	v_readlane_b32 s82, v3, 1                                  // 000000009110: D2890052 00010303
	s_lshr_b32 s61, s82, 24                                    // 000000009118: 8F3D9852
	s_and_b32 s82, s82, 0xffffff                               // 00000000911C: 8652FF52 00FFFFFF
	s_mul_i32 s82, s82, s71                                    // 000000009124: 92524752
	s_mul_i32 s61, s60, s61                                    // 000000009128: 923D3D3C
	s_add_u32 s82, s82, s61                                    // 00000000912C: 80523D52
	v_mul_lo_u32 v7, v4, s82                                   // 000000009130: D2850007 0000A504
	v_add_u32_e32 v50, v6, v7                                  // 000000009138: 68640F06
	v_readlane_b32 s82, v3, 2                                  // 00000000913C: D2890052 00010503
	s_lshr_b32 s61, s82, 24                                    // 000000009144: 8F3D9852
	s_and_b32 s82, s82, 0xffffff                               // 000000009148: 8652FF52 00FFFFFF
	s_mul_i32 s82, s82, s71                                    // 000000009150: 92524752
	s_mul_i32 s61, s60, s61                                    // 000000009154: 923D3D3C
	s_add_u32 s82, s82, s61                                    // 000000009158: 80523D52
	v_mul_lo_u32 v6, v5, s82                                   // 00000000915C: D2850006 0000A505
	v_readlane_b32 s82, v3, 3                                  // 000000009164: D2890052 00010703
	s_lshr_b32 s61, s82, 24                                    // 00000000916C: 8F3D9852
	s_and_b32 s82, s82, 0xffffff                               // 000000009170: 8652FF52 00FFFFFF
	s_mul_i32 s82, s82, s71                                    // 000000009178: 92524752
	s_mul_i32 s61, s60, s61                                    // 00000000917C: 923D3D3C
	s_add_u32 s82, s82, s61                                    // 000000009180: 80523D52
	v_mul_lo_u32 v7, v4, s82                                   // 000000009184: D2850007 0000A504
	v_add_u32_e32 v51, v6, v7                                  // 00000000918C: 68660F06
	v_readlane_b32 s82, v3, 4                                  // 000000009190: D2890052 00010903
	s_lshr_b32 s61, s82, 24                                    // 000000009198: 8F3D9852
	s_and_b32 s82, s82, 0xffffff                               // 00000000919C: 8652FF52 00FFFFFF
	s_mul_i32 s82, s82, s71                                    // 0000000091A4: 92524752
	s_mul_i32 s61, s60, s61                                    // 0000000091A8: 923D3D3C
	s_add_u32 s82, s82, s61                                    // 0000000091AC: 80523D52
	v_mul_lo_u32 v6, v5, s82                                   // 0000000091B0: D2850006 0000A505
	v_readlane_b32 s82, v3, 5                                  // 0000000091B8: D2890052 00010B03
	s_lshr_b32 s61, s82, 24                                    // 0000000091C0: 8F3D9852
	s_and_b32 s82, s82, 0xffffff                               // 0000000091C4: 8652FF52 00FFFFFF
	s_mul_i32 s82, s82, s71                                    // 0000000091CC: 92524752
	s_mul_i32 s61, s60, s61                                    // 0000000091D0: 923D3D3C
	s_add_u32 s82, s82, s61                                    // 0000000091D4: 80523D52
	v_mul_lo_u32 v7, v4, s82                                   // 0000000091D8: D2850007 0000A504
	v_add_u32_e32 v52, v6, v7                                  // 0000000091E0: 68680F06
	v_readlane_b32 s82, v3, 6                                  // 0000000091E4: D2890052 00010D03
	s_lshr_b32 s61, s82, 24                                    // 0000000091EC: 8F3D9852
	s_and_b32 s82, s82, 0xffffff                               // 0000000091F0: 8652FF52 00FFFFFF
	s_mul_i32 s82, s82, s71                                    // 0000000091F8: 92524752
	s_mul_i32 s61, s60, s61                                    // 0000000091FC: 923D3D3C
	s_add_u32 s82, s82, s61                                    // 000000009200: 80523D52
	v_mul_lo_u32 v6, v5, s82                                   // 000000009204: D2850006 0000A505
	v_readlane_b32 s82, v3, 7                                  // 00000000920C: D2890052 00010F03
	s_lshr_b32 s61, s82, 24                                    // 000000009214: 8F3D9852
	s_and_b32 s82, s82, 0xffffff                               // 000000009218: 8652FF52 00FFFFFF
	s_mul_i32 s82, s82, s71                                    // 000000009220: 92524752
	s_mul_i32 s61, s60, s61                                    // 000000009224: 923D3D3C
	s_add_u32 s82, s82, s61                                    // 000000009228: 80523D52
	v_mul_lo_u32 v7, v4, s82                                   // 00000000922C: D2850007 0000A504
	v_add_u32_e32 v53, v6, v7                                  // 000000009234: 686A0F06
	v_readlane_b32 s82, v3, 8                                  // 000000009238: D2890052 00011103
	s_lshr_b32 s61, s82, 24                                    // 000000009240: 8F3D9852
	s_and_b32 s82, s82, 0xffffff                               // 000000009244: 8652FF52 00FFFFFF
	s_mul_i32 s82, s82, s71                                    // 00000000924C: 92524752
	s_mul_i32 s61, s60, s61                                    // 000000009250: 923D3D3C
	s_add_u32 s82, s82, s61                                    // 000000009254: 80523D52
	v_mul_lo_u32 v6, v5, s82                                   // 000000009258: D2850006 0000A505
	v_readlane_b32 s82, v3, 9                                  // 000000009260: D2890052 00011303
	s_lshr_b32 s61, s82, 24                                    // 000000009268: 8F3D9852
	s_and_b32 s82, s82, 0xffffff                               // 00000000926C: 8652FF52 00FFFFFF
	s_mul_i32 s82, s82, s71                                    // 000000009274: 92524752
	s_mul_i32 s61, s60, s61                                    // 000000009278: 923D3D3C
	s_add_u32 s82, s82, s61                                    // 00000000927C: 80523D52
	v_mul_lo_u32 v7, v4, s82                                   // 000000009280: D2850007 0000A504
	v_add_u32_e32 v54, v6, v7                                  // 000000009288: 686C0F06
	v_readlane_b32 s82, v3, 10                                 // 00000000928C: D2890052 00011503
	s_lshr_b32 s61, s82, 24                                    // 000000009294: 8F3D9852
	s_and_b32 s82, s82, 0xffffff                               // 000000009298: 8652FF52 00FFFFFF
	s_mul_i32 s82, s82, s71                                    // 0000000092A0: 92524752
	s_mul_i32 s61, s60, s61                                    // 0000000092A4: 923D3D3C
	s_add_u32 s82, s82, s61                                    // 0000000092A8: 80523D52
	v_mul_lo_u32 v6, v5, s82                                   // 0000000092AC: D2850006 0000A505
	v_readlane_b32 s82, v3, 11                                 // 0000000092B4: D2890052 00011703
	s_lshr_b32 s61, s82, 24                                    // 0000000092BC: 8F3D9852
	s_and_b32 s82, s82, 0xffffff                               // 0000000092C0: 8652FF52 00FFFFFF
	s_mul_i32 s82, s82, s71                                    // 0000000092C8: 92524752
	s_mul_i32 s61, s60, s61                                    // 0000000092CC: 923D3D3C
	s_add_u32 s82, s82, s61                                    // 0000000092D0: 80523D52
	v_mul_lo_u32 v7, v4, s82                                   // 0000000092D4: D2850007 0000A504
	v_add_u32_e32 v55, v6, v7                                  // 0000000092DC: 686E0F06
	v_readlane_b32 s82, v3, 12                                 // 0000000092E0: D2890052 00011903
	s_lshr_b32 s61, s82, 24                                    // 0000000092E8: 8F3D9852
	s_and_b32 s82, s82, 0xffffff                               // 0000000092EC: 8652FF52 00FFFFFF
	s_mul_i32 s82, s82, s71                                    // 0000000092F4: 92524752
	s_mul_i32 s61, s60, s61                                    // 0000000092F8: 923D3D3C
	s_add_u32 s82, s82, s61                                    // 0000000092FC: 80523D52
	v_mul_lo_u32 v6, v5, s82                                   // 000000009300: D2850006 0000A505
	v_readlane_b32 s82, v3, 13                                 // 000000009308: D2890052 00011B03
	s_lshr_b32 s61, s82, 24                                    // 000000009310: 8F3D9852
	s_and_b32 s82, s82, 0xffffff                               // 000000009314: 8652FF52 00FFFFFF
	s_mul_i32 s82, s82, s71                                    // 00000000931C: 92524752
	s_mul_i32 s61, s60, s61                                    // 000000009320: 923D3D3C
	s_add_u32 s82, s82, s61                                    // 000000009324: 80523D52
	v_mul_lo_u32 v7, v4, s82                                   // 000000009328: D2850007 0000A504
	v_add_u32_e32 v56, v6, v7                                  // 000000009330: 68700F06
	v_readlane_b32 s82, v3, 14                                 // 000000009334: D2890052 00011D03
	s_lshr_b32 s61, s82, 24                                    // 00000000933C: 8F3D9852
	s_and_b32 s82, s82, 0xffffff                               // 000000009340: 8652FF52 00FFFFFF
	s_mul_i32 s82, s82, s71                                    // 000000009348: 92524752
	s_mul_i32 s61, s60, s61                                    // 00000000934C: 923D3D3C
	s_add_u32 s82, s82, s61                                    // 000000009350: 80523D52
	v_mul_lo_u32 v6, v5, s82                                   // 000000009354: D2850006 0000A505
	v_readlane_b32 s82, v3, 15                                 // 00000000935C: D2890052 00011F03
	s_lshr_b32 s61, s82, 24                                    // 000000009364: 8F3D9852
	s_and_b32 s82, s82, 0xffffff                               // 000000009368: 8652FF52 00FFFFFF
	s_mul_i32 s82, s82, s71                                    // 000000009370: 92524752
	s_mul_i32 s61, s60, s61                                    // 000000009374: 923D3D3C
	s_add_u32 s82, s82, s61                                    // 000000009378: 80523D52
	v_mul_lo_u32 v7, v4, s82                                   // 00000000937C: D2850007 0000A504
	v_add_u32_e32 v57, v6, v7                                  // 000000009384: 68720F06
	v_readlane_b32 s82, v3, 16                                 // 000000009388: D2890052 00012103
	s_lshr_b32 s61, s82, 24                                    // 000000009390: 8F3D9852
	s_and_b32 s82, s82, 0xffffff                               // 000000009394: 8652FF52 00FFFFFF
	s_mul_i32 s82, s82, s71                                    // 00000000939C: 92524752
	s_mul_i32 s61, s60, s61                                    // 0000000093A0: 923D3D3C
	s_add_u32 s82, s82, s61                                    // 0000000093A4: 80523D52
	v_mul_lo_u32 v6, v5, s82                                   // 0000000093A8: D2850006 0000A505
	v_readlane_b32 s82, v3, 17                                 // 0000000093B0: D2890052 00012303
	s_lshr_b32 s61, s82, 24                                    // 0000000093B8: 8F3D9852
	s_and_b32 s82, s82, 0xffffff                               // 0000000093BC: 8652FF52 00FFFFFF
	s_mul_i32 s82, s82, s71                                    // 0000000093C4: 92524752
	s_mul_i32 s61, s60, s61                                    // 0000000093C8: 923D3D3C
	s_add_u32 s82, s82, s61                                    // 0000000093CC: 80523D52
	v_mul_lo_u32 v7, v4, s82                                   // 0000000093D0: D2850007 0000A504
	v_add_u32_e32 v58, v6, v7                                  // 0000000093D8: 68740F06
	v_readlane_b32 s82, v3, 18                                 // 0000000093DC: D2890052 00012503
	s_lshr_b32 s61, s82, 24                                    // 0000000093E4: 8F3D9852
	s_and_b32 s82, s82, 0xffffff                               // 0000000093E8: 8652FF52 00FFFFFF
	s_mul_i32 s82, s82, s71                                    // 0000000093F0: 92524752
	s_mul_i32 s61, s60, s61                                    // 0000000093F4: 923D3D3C
	s_add_u32 s82, s82, s61                                    // 0000000093F8: 80523D52
	v_mul_lo_u32 v6, v5, s82                                   // 0000000093FC: D2850006 0000A505
	v_readlane_b32 s82, v3, 19                                 // 000000009404: D2890052 00012703
	s_lshr_b32 s61, s82, 24                                    // 00000000940C: 8F3D9852
	s_and_b32 s82, s82, 0xffffff                               // 000000009410: 8652FF52 00FFFFFF
	s_mul_i32 s82, s82, s71                                    // 000000009418: 92524752
	s_mul_i32 s61, s60, s61                                    // 00000000941C: 923D3D3C
	s_add_u32 s82, s82, s61                                    // 000000009420: 80523D52
	v_mul_lo_u32 v7, v4, s82                                   // 000000009424: D2850007 0000A504
	v_add_u32_e32 v59, v6, v7                                  // 00000000942C: 68760F06
	v_and_b32_e32 v4, 31, v0                                   // 000000009430: 2608009F
	v_lshrrev_b32_e32 v4, 1, v4                                // 000000009434: 20080881
	s_cmp_eq_u32 s88, 0                                        // 000000009438: BF068058
	s_cselect_b32 s61, 2, 4                                    // 00000000943C: 853D8482
	v_mul_lo_u32 v4, v4, s61                                   // 000000009440: D2850004 00007B04
	v_and_b32_e64 v5, v0, 1                                    // 000000009448: D1130005 00010300
	v_add_u32_e32 v4, v4, v5                                   // 000000009450: 68080B04
	v_lshlrev_b32_e32 v4, 2, v4                                // 000000009454: 24080882
	v_add_u32_e32 v50, v50, v4                                 // 000000009458: 68640932
	v_add_u32_e32 v51, v51, v4                                 // 00000000945C: 68660933
	v_add_u32_e32 v52, v52, v4                                 // 000000009460: 68680934
	v_add_u32_e32 v53, v53, v4                                 // 000000009464: 686A0935
	v_add_u32_e32 v54, v54, v4                                 // 000000009468: 686C0936
	v_add_u32_e32 v55, v55, v4                                 // 00000000946C: 686E0937
	v_add_u32_e32 v56, v56, v4                                 // 000000009470: 68700938
	v_add_u32_e32 v57, v57, v4                                 // 000000009474: 68720939
	v_add_u32_e32 v58, v58, v4                                 // 000000009478: 6874093A
	v_add_u32_e32 v59, v59, v4                                 // 00000000947C: 6876093B
	s_waitcnt lgkmcnt(0)                                       // 000000009480: BF8CC07F
	s_barrier                                                  // 000000009484: BF8A0000
	ds_read_b32 v64, v21                                       // 000000009488: D86C0000 40000015
	ds_read_b32 v65, v21 offset:64                             // 000000009490: D86C0040 41000015
	ds_read_b32 v68, v21 offset:2176                           // 000000009498: D86C0880 44000015
	ds_read_b32 v69, v21 offset:2240                           // 0000000094A0: D86C08C0 45000015
	ds_read_b32 v72, v21 offset:4352                           // 0000000094A8: D86C1100 48000015
	ds_read_b32 v73, v21 offset:4416                           // 0000000094B0: D86C1140 49000015
	ds_read_b32 v76, v21 offset:6528                           // 0000000094B8: D86C1980 4C000015
	ds_read_b32 v77, v21 offset:6592                           // 0000000094C0: D86C19C0 4D000015
	ds_read_b32 v80, v21 offset:8704                           // 0000000094C8: D86C2200 50000015
	ds_read_b32 v81, v21 offset:8768                           // 0000000094D0: D86C2240 51000015
	ds_read_b32 v84, v21 offset:10880                          // 0000000094D8: D86C2A80 54000015
	ds_read_b32 v85, v21 offset:10944                          // 0000000094E0: D86C2AC0 55000015
	ds_read_b32 v88, v21 offset:13056                          // 0000000094E8: D86C3300 58000015
	ds_read_b32 v89, v21 offset:13120                          // 0000000094F0: D86C3340 59000015
	ds_read_b32 v92, v21 offset:15232                          // 0000000094F8: D86C3B80 5C000015
	ds_read_b32 v93, v21 offset:15296                          // 000000009500: D86C3BC0 5D000015
	ds_read_b32 v96, v21 offset:17408                          // 000000009508: D86C4400 60000015
	ds_read_b32 v97, v21 offset:17472                          // 000000009510: D86C4440 61000015
	ds_read_b32 v100, v21 offset:19584                         // 000000009518: D86C4C80 64000015
	ds_read_b32 v101, v21 offset:19648                         // 000000009520: D86C4CC0 65000015
	ds_read_b32 v104, v21 offset:21760                         // 000000009528: D86C5500 68000015
	ds_read_b32 v105, v21 offset:21824                         // 000000009530: D86C5540 69000015
	ds_read_b32 v108, v21 offset:23936                         // 000000009538: D86C5D80 6C000015
	ds_read_b32 v109, v21 offset:24000                         // 000000009540: D86C5DC0 6D000015
	ds_read_b32 v112, v21 offset:26112                         // 000000009548: D86C6600 70000015
	ds_read_b32 v113, v21 offset:26176                         // 000000009550: D86C6640 71000015
	ds_read_b32 v116, v21 offset:28288                         // 000000009558: D86C6E80 74000015
	ds_read_b32 v117, v21 offset:28352                         // 000000009560: D86C6EC0 75000015
	ds_read_b32 v120, v21 offset:30464                         // 000000009568: D86C7700 78000015
	ds_read_b32 v121, v21 offset:30528                         // 000000009570: D86C7740 79000015
	ds_read_b32 v124, v21 offset:32640                         // 000000009578: D86C7F80 7C000015
	ds_read_b32 v125, v21 offset:32704                         // 000000009580: D86C7FC0 7D000015
	ds_read_b32 v128, v21 offset:34816                         // 000000009588: D86C8800 80000015
	ds_read_b32 v129, v21 offset:34880                         // 000000009590: D86C8840 81000015
	ds_read_b32 v132, v21 offset:36992                         // 000000009598: D86C9080 84000015
	ds_read_b32 v133, v21 offset:37056                         // 0000000095A0: D86C90C0 85000015
	ds_read_b32 v136, v21 offset:39168                         // 0000000095A8: D86C9900 88000015
	ds_read_b32 v137, v21 offset:39232                         // 0000000095B0: D86C9940 89000015
	ds_read_b32 v140, v21 offset:41344                         // 0000000095B8: D86CA180 8C000015
	ds_read_b32 v141, v21 offset:41408                         // 0000000095C0: D86CA1C0 8D000015
	s_waitcnt lgkmcnt(0)                                       // 0000000095C8: BF8CC07F
	s_mov_b32 s36, -1                                          // 0000000095CC: BEA400C1
	s_mov_b32 s37, -1                                          // 0000000095D0: BEA500C1
	v_mov_b32_e32 v7, 0                                        // 0000000095D4: 7E0E0280
	s_mov_b64 exec, s[36:37]                                   // 0000000095D8: BEFE0124
	v_mov_b32_e32 v6, v50                                      // 0000000095DC: 7E0C0332
	s_mov_b64 s[60:61], 0                                      // 0000000095E0: BEBC0180
	v_readlane_b32 s82, v3, 0                                  // 0000000095E4: D2890052 00010103
	s_and_b32 s82, s82, 0xffffff                               // 0000000095EC: 8652FF52 00FFFFFF
	s_cmp_lt_u32 s82, s66                                      // 0000000095F4: BF0A4252
	s_cselect_b32 s20, s36, s60                                // 0000000095F8: 85143C24
	v_readlane_b32 s82, v3, 1                                  // 0000000095FC: D2890052 00010303
	s_and_b32 s82, s82, 0xffffff                               // 000000009604: 8652FF52 00FFFFFF
	s_cmp_lt_u32 s82, s66                                      // 00000000960C: BF0A4252
	s_cselect_b32 s21, s36, s60                                // 000000009610: 85153C24
	s_mov_b64 exec, s[20:21]                                   // 000000009614: BEFE0114
	global_atomic_add_f32 v6, v64, s[8:9]                      // 000000009618: DD348000 00084006
	global_atomic_add_f32 v6, v68, s[8:9] offset:256           // 000000009620: DD348100 00084406
	global_atomic_add_f32 v6, v72, s[8:9] offset:512           // 000000009628: DD348200 00084806
	global_atomic_add_f32 v6, v76, s[8:9] offset:768           // 000000009630: DD348300 00084C06
	s_mov_b64 exec, s[36:37]                                   // 000000009638: BEFE0124
	v_mov_b32_e32 v6, v51                                      // 00000000963C: 7E0C0333
	s_mov_b64 s[60:61], 0                                      // 000000009640: BEBC0180
	v_readlane_b32 s82, v3, 2                                  // 000000009644: D2890052 00010503
	s_and_b32 s82, s82, 0xffffff                               // 00000000964C: 8652FF52 00FFFFFF
	s_cmp_lt_u32 s82, s66                                      // 000000009654: BF0A4252
	s_cselect_b32 s20, s36, s60                                // 000000009658: 85143C24
	v_readlane_b32 s82, v3, 3                                  // 00000000965C: D2890052 00010703
	s_and_b32 s82, s82, 0xffffff                               // 000000009664: 8652FF52 00FFFFFF
	s_cmp_lt_u32 s82, s66                                      // 00000000966C: BF0A4252
	s_cselect_b32 s21, s36, s60                                // 000000009670: 85153C24
	s_mov_b64 exec, s[20:21]                                   // 000000009674: BEFE0114
	global_atomic_add_f32 v6, v65, s[8:9]                      // 000000009678: DD348000 00084106
	global_atomic_add_f32 v6, v69, s[8:9] offset:256           // 000000009680: DD348100 00084506
	global_atomic_add_f32 v6, v73, s[8:9] offset:512           // 000000009688: DD348200 00084906
	global_atomic_add_f32 v6, v77, s[8:9] offset:768           // 000000009690: DD348300 00084D06
	s_mov_b64 exec, s[36:37]                                   // 000000009698: BEFE0124
	v_mov_b32_e32 v6, v52                                      // 00000000969C: 7E0C0334
	s_mov_b64 s[60:61], 0                                      // 0000000096A0: BEBC0180
	v_readlane_b32 s82, v3, 4                                  // 0000000096A4: D2890052 00010903
	s_and_b32 s82, s82, 0xffffff                               // 0000000096AC: 8652FF52 00FFFFFF
	s_cmp_lt_u32 s82, s66                                      // 0000000096B4: BF0A4252
	s_cselect_b32 s20, s36, s60                                // 0000000096B8: 85143C24
	v_readlane_b32 s82, v3, 5                                  // 0000000096BC: D2890052 00010B03
	s_and_b32 s82, s82, 0xffffff                               // 0000000096C4: 8652FF52 00FFFFFF
	s_cmp_lt_u32 s82, s66                                      // 0000000096CC: BF0A4252
	s_cselect_b32 s21, s36, s60                                // 0000000096D0: 85153C24
	s_mov_b64 exec, s[20:21]                                   // 0000000096D4: BEFE0114
	global_atomic_add_f32 v6, v80, s[8:9]                      // 0000000096D8: DD348000 00085006
	global_atomic_add_f32 v6, v84, s[8:9] offset:256           // 0000000096E0: DD348100 00085406
	global_atomic_add_f32 v6, v88, s[8:9] offset:512           // 0000000096E8: DD348200 00085806
	global_atomic_add_f32 v6, v92, s[8:9] offset:768           // 0000000096F0: DD348300 00085C06
	s_mov_b64 exec, s[36:37]                                   // 0000000096F8: BEFE0124
	v_mov_b32_e32 v6, v53                                      // 0000000096FC: 7E0C0335
	s_mov_b64 s[60:61], 0                                      // 000000009700: BEBC0180
	v_readlane_b32 s82, v3, 6                                  // 000000009704: D2890052 00010D03
	s_and_b32 s82, s82, 0xffffff                               // 00000000970C: 8652FF52 00FFFFFF
	s_cmp_lt_u32 s82, s66                                      // 000000009714: BF0A4252
	s_cselect_b32 s20, s36, s60                                // 000000009718: 85143C24
	v_readlane_b32 s82, v3, 7                                  // 00000000971C: D2890052 00010F03
	s_and_b32 s82, s82, 0xffffff                               // 000000009724: 8652FF52 00FFFFFF
	s_cmp_lt_u32 s82, s66                                      // 00000000972C: BF0A4252
	s_cselect_b32 s21, s36, s60                                // 000000009730: 85153C24
	s_mov_b64 exec, s[20:21]                                   // 000000009734: BEFE0114
	global_atomic_add_f32 v6, v81, s[8:9]                      // 000000009738: DD348000 00085106
	global_atomic_add_f32 v6, v85, s[8:9] offset:256           // 000000009740: DD348100 00085506
	global_atomic_add_f32 v6, v89, s[8:9] offset:512           // 000000009748: DD348200 00085906
	global_atomic_add_f32 v6, v93, s[8:9] offset:768           // 000000009750: DD348300 00085D06
	s_mov_b64 exec, s[36:37]                                   // 000000009758: BEFE0124
	v_mov_b32_e32 v6, v54                                      // 00000000975C: 7E0C0336
	s_mov_b64 s[60:61], 0                                      // 000000009760: BEBC0180
	v_readlane_b32 s82, v3, 8                                  // 000000009764: D2890052 00011103
	s_and_b32 s82, s82, 0xffffff                               // 00000000976C: 8652FF52 00FFFFFF
	s_cmp_lt_u32 s82, s66                                      // 000000009774: BF0A4252
	s_cselect_b32 s20, s36, s60                                // 000000009778: 85143C24
	v_readlane_b32 s82, v3, 9                                  // 00000000977C: D2890052 00011303
	s_and_b32 s82, s82, 0xffffff                               // 000000009784: 8652FF52 00FFFFFF
	s_cmp_lt_u32 s82, s66                                      // 00000000978C: BF0A4252
	s_cselect_b32 s21, s36, s60                                // 000000009790: 85153C24
	s_mov_b64 exec, s[20:21]                                   // 000000009794: BEFE0114
	global_atomic_add_f32 v6, v96, s[8:9]                      // 000000009798: DD348000 00086006
	global_atomic_add_f32 v6, v100, s[8:9] offset:256          // 0000000097A0: DD348100 00086406
	global_atomic_add_f32 v6, v104, s[8:9] offset:512          // 0000000097A8: DD348200 00086806
	global_atomic_add_f32 v6, v108, s[8:9] offset:768          // 0000000097B0: DD348300 00086C06
	s_mov_b64 exec, s[36:37]                                   // 0000000097B8: BEFE0124
	v_mov_b32_e32 v6, v55                                      // 0000000097BC: 7E0C0337
	s_mov_b64 s[60:61], 0                                      // 0000000097C0: BEBC0180
	v_readlane_b32 s82, v3, 10                                 // 0000000097C4: D2890052 00011503
	s_and_b32 s82, s82, 0xffffff                               // 0000000097CC: 8652FF52 00FFFFFF
	s_cmp_lt_u32 s82, s66                                      // 0000000097D4: BF0A4252
	s_cselect_b32 s20, s36, s60                                // 0000000097D8: 85143C24
	v_readlane_b32 s82, v3, 11                                 // 0000000097DC: D2890052 00011703
	s_and_b32 s82, s82, 0xffffff                               // 0000000097E4: 8652FF52 00FFFFFF
	s_cmp_lt_u32 s82, s66                                      // 0000000097EC: BF0A4252
	s_cselect_b32 s21, s36, s60                                // 0000000097F0: 85153C24
	s_mov_b64 exec, s[20:21]                                   // 0000000097F4: BEFE0114
	global_atomic_add_f32 v6, v97, s[8:9]                      // 0000000097F8: DD348000 00086106
	global_atomic_add_f32 v6, v101, s[8:9] offset:256          // 000000009800: DD348100 00086506
	global_atomic_add_f32 v6, v105, s[8:9] offset:512          // 000000009808: DD348200 00086906
	global_atomic_add_f32 v6, v109, s[8:9] offset:768          // 000000009810: DD348300 00086D06
	s_mov_b64 exec, s[36:37]                                   // 000000009818: BEFE0124
	v_mov_b32_e32 v6, v56                                      // 00000000981C: 7E0C0338
	s_mov_b64 s[60:61], 0                                      // 000000009820: BEBC0180
	v_readlane_b32 s82, v3, 12                                 // 000000009824: D2890052 00011903
	s_and_b32 s82, s82, 0xffffff                               // 00000000982C: 8652FF52 00FFFFFF
	s_cmp_lt_u32 s82, s66                                      // 000000009834: BF0A4252
	s_cselect_b32 s20, s36, s60                                // 000000009838: 85143C24
	v_readlane_b32 s82, v3, 13                                 // 00000000983C: D2890052 00011B03
	s_and_b32 s82, s82, 0xffffff                               // 000000009844: 8652FF52 00FFFFFF
	s_cmp_lt_u32 s82, s66                                      // 00000000984C: BF0A4252
	s_cselect_b32 s21, s36, s60                                // 000000009850: 85153C24
	s_mov_b64 exec, s[20:21]                                   // 000000009854: BEFE0114
	global_atomic_add_f32 v6, v112, s[8:9]                     // 000000009858: DD348000 00087006
	global_atomic_add_f32 v6, v116, s[8:9] offset:256          // 000000009860: DD348100 00087406
	global_atomic_add_f32 v6, v120, s[8:9] offset:512          // 000000009868: DD348200 00087806
	global_atomic_add_f32 v6, v124, s[8:9] offset:768          // 000000009870: DD348300 00087C06
	s_mov_b64 exec, s[36:37]                                   // 000000009878: BEFE0124
	v_mov_b32_e32 v6, v57                                      // 00000000987C: 7E0C0339
	s_mov_b64 s[60:61], 0                                      // 000000009880: BEBC0180
	v_readlane_b32 s82, v3, 14                                 // 000000009884: D2890052 00011D03
	s_and_b32 s82, s82, 0xffffff                               // 00000000988C: 8652FF52 00FFFFFF
	s_cmp_lt_u32 s82, s66                                      // 000000009894: BF0A4252
	s_cselect_b32 s20, s36, s60                                // 000000009898: 85143C24
	v_readlane_b32 s82, v3, 15                                 // 00000000989C: D2890052 00011F03
	s_and_b32 s82, s82, 0xffffff                               // 0000000098A4: 8652FF52 00FFFFFF
	s_cmp_lt_u32 s82, s66                                      // 0000000098AC: BF0A4252
	s_cselect_b32 s21, s36, s60                                // 0000000098B0: 85153C24
	s_mov_b64 exec, s[20:21]                                   // 0000000098B4: BEFE0114
	global_atomic_add_f32 v6, v113, s[8:9]                     // 0000000098B8: DD348000 00087106
	global_atomic_add_f32 v6, v117, s[8:9] offset:256          // 0000000098C0: DD348100 00087506
	global_atomic_add_f32 v6, v121, s[8:9] offset:512          // 0000000098C8: DD348200 00087906
	global_atomic_add_f32 v6, v125, s[8:9] offset:768          // 0000000098D0: DD348300 00087D06
	s_mov_b64 exec, s[36:37]                                   // 0000000098D8: BEFE0124
	v_mov_b32_e32 v6, v58                                      // 0000000098DC: 7E0C033A
	s_mov_b64 s[60:61], 0                                      // 0000000098E0: BEBC0180
	v_readlane_b32 s82, v3, 16                                 // 0000000098E4: D2890052 00012103
	s_and_b32 s82, s82, 0xffffff                               // 0000000098EC: 8652FF52 00FFFFFF
	s_cmp_lt_u32 s82, s66                                      // 0000000098F4: BF0A4252
	s_cselect_b32 s20, s36, s60                                // 0000000098F8: 85143C24
	v_readlane_b32 s82, v3, 17                                 // 0000000098FC: D2890052 00012303
	s_and_b32 s82, s82, 0xffffff                               // 000000009904: 8652FF52 00FFFFFF
	s_cmp_lt_u32 s82, s66                                      // 00000000990C: BF0A4252
	s_cselect_b32 s21, s36, s60                                // 000000009910: 85153C24
	s_mov_b64 exec, s[20:21]                                   // 000000009914: BEFE0114
	global_atomic_add_f32 v6, v128, s[8:9]                     // 000000009918: DD348000 00088006
	global_atomic_add_f32 v6, v132, s[8:9] offset:256          // 000000009920: DD348100 00088406
	global_atomic_add_f32 v6, v136, s[8:9] offset:512          // 000000009928: DD348200 00088806
	global_atomic_add_f32 v6, v140, s[8:9] offset:768          // 000000009930: DD348300 00088C06
	s_mov_b64 exec, s[36:37]                                   // 000000009938: BEFE0124
	v_mov_b32_e32 v6, v59                                      // 00000000993C: 7E0C033B
	s_mov_b64 s[60:61], 0                                      // 000000009940: BEBC0180
	v_readlane_b32 s82, v3, 18                                 // 000000009944: D2890052 00012503
	s_and_b32 s82, s82, 0xffffff                               // 00000000994C: 8652FF52 00FFFFFF
	s_cmp_lt_u32 s82, s66                                      // 000000009954: BF0A4252
	s_cselect_b32 s20, s36, s60                                // 000000009958: 85143C24
	v_readlane_b32 s82, v3, 19                                 // 00000000995C: D2890052 00012703
	s_and_b32 s82, s82, 0xffffff                               // 000000009964: 8652FF52 00FFFFFF
	s_cmp_lt_u32 s82, s66                                      // 00000000996C: BF0A4252
	s_cselect_b32 s21, s36, s60                                // 000000009970: 85153C24
	s_mov_b64 exec, s[20:21]                                   // 000000009974: BEFE0114
	global_atomic_add_f32 v6, v129, s[8:9]                     // 000000009978: DD348000 00088106
	global_atomic_add_f32 v6, v133, s[8:9] offset:256          // 000000009980: DD348100 00088506
	global_atomic_add_f32 v6, v137, s[8:9] offset:512          // 000000009988: DD348200 00088906
	global_atomic_add_f32 v6, v141, s[8:9] offset:768          // 000000009990: DD348300 00088D06
	s_mov_b64 exec, s[36:37]                                   // 000000009998: BEFE0124
	ds_write_b64 v20, v[66:67]                                 // 00000000999C: D89A0000 00004214
	ds_write_b64 v20, v[70:71] offset:8704                     // 0000000099A4: D89A2200 00004614
	ds_write_b64 v20, v[74:75] offset:17408                    // 0000000099AC: D89A4400 00004A14
	ds_write_b64 v20, v[78:79] offset:26112                    // 0000000099B4: D89A6600 00004E14
	ds_write_b64 v20, v[82:83] offset:34816                    // 0000000099BC: D89A8800 00005214
	ds_write_b64 v20, v[86:87] offset:2176                     // 0000000099C4: D89A0880 00005614
	ds_write_b64 v20, v[90:91] offset:10880                    // 0000000099CC: D89A2A80 00005A14
	ds_write_b64 v20, v[94:95] offset:19584                    // 0000000099D4: D89A4C80 00005E14
	ds_write_b64 v20, v[98:99] offset:28288                    // 0000000099DC: D89A6E80 00006214
	ds_write_b64 v20, v[102:103] offset:36992                  // 0000000099E4: D89A9080 00006614
	ds_write_b64 v20, v[106:107] offset:4352                   // 0000000099EC: D89A1100 00006A14
	ds_write_b64 v20, v[110:111] offset:13056                  // 0000000099F4: D89A3300 00006E14
	ds_write_b64 v20, v[114:115] offset:21760                  // 0000000099FC: D89A5500 00007214
	ds_write_b64 v20, v[118:119] offset:30464                  // 000000009A04: D89A7700 00007614
	ds_write_b64 v20, v[122:123] offset:39168                  // 000000009A0C: D89A9900 00007A14
	ds_write_b64 v20, v[126:127] offset:6528                   // 000000009A14: D89A1980 00007E14
	ds_write_b64 v20, v[130:131] offset:15232                  // 000000009A1C: D89A3B80 00008214
	ds_write_b64 v20, v[134:135] offset:23936                  // 000000009A24: D89A5D80 00008614
	ds_write_b64 v20, v[138:139] offset:32640                  // 000000009A2C: D89A7F80 00008A14
	ds_write_b64 v20, v[142:143] offset:41344                  // 000000009A34: D89AA180 00008E14
	s_waitcnt lgkmcnt(0)                                       // 000000009A3C: BF8CC07F
	s_barrier                                                  // 000000009A40: BF8A0000
	ds_read_b32 v66, v21                                       // 000000009A44: D86C0000 42000015
	ds_read_b32 v67, v21 offset:64                             // 000000009A4C: D86C0040 43000015
	ds_read_b32 v70, v21 offset:2176                           // 000000009A54: D86C0880 46000015
	ds_read_b32 v71, v21 offset:2240                           // 000000009A5C: D86C08C0 47000015
	ds_read_b32 v74, v21 offset:4352                           // 000000009A64: D86C1100 4A000015
	ds_read_b32 v75, v21 offset:4416                           // 000000009A6C: D86C1140 4B000015
	ds_read_b32 v78, v21 offset:6528                           // 000000009A74: D86C1980 4E000015
	ds_read_b32 v79, v21 offset:6592                           // 000000009A7C: D86C19C0 4F000015
	ds_read_b32 v82, v21 offset:8704                           // 000000009A84: D86C2200 52000015
	ds_read_b32 v83, v21 offset:8768                           // 000000009A8C: D86C2240 53000015
	ds_read_b32 v86, v21 offset:10880                          // 000000009A94: D86C2A80 56000015
	ds_read_b32 v87, v21 offset:10944                          // 000000009A9C: D86C2AC0 57000015
	ds_read_b32 v90, v21 offset:13056                          // 000000009AA4: D86C3300 5A000015
	ds_read_b32 v91, v21 offset:13120                          // 000000009AAC: D86C3340 5B000015
	ds_read_b32 v94, v21 offset:15232                          // 000000009AB4: D86C3B80 5E000015
	ds_read_b32 v95, v21 offset:15296                          // 000000009ABC: D86C3BC0 5F000015
	ds_read_b32 v98, v21 offset:17408                          // 000000009AC4: D86C4400 62000015
	ds_read_b32 v99, v21 offset:17472                          // 000000009ACC: D86C4440 63000015
	ds_read_b32 v102, v21 offset:19584                         // 000000009AD4: D86C4C80 66000015
	ds_read_b32 v103, v21 offset:19648                         // 000000009ADC: D86C4CC0 67000015
	ds_read_b32 v106, v21 offset:21760                         // 000000009AE4: D86C5500 6A000015
	ds_read_b32 v107, v21 offset:21824                         // 000000009AEC: D86C5540 6B000015
	ds_read_b32 v110, v21 offset:23936                         // 000000009AF4: D86C5D80 6E000015
	ds_read_b32 v111, v21 offset:24000                         // 000000009AFC: D86C5DC0 6F000015
	ds_read_b32 v114, v21 offset:26112                         // 000000009B04: D86C6600 72000015
	ds_read_b32 v115, v21 offset:26176                         // 000000009B0C: D86C6640 73000015
	ds_read_b32 v118, v21 offset:28288                         // 000000009B14: D86C6E80 76000015
	ds_read_b32 v119, v21 offset:28352                         // 000000009B1C: D86C6EC0 77000015
	ds_read_b32 v122, v21 offset:30464                         // 000000009B24: D86C7700 7A000015
	ds_read_b32 v123, v21 offset:30528                         // 000000009B2C: D86C7740 7B000015
	ds_read_b32 v126, v21 offset:32640                         // 000000009B34: D86C7F80 7E000015
	ds_read_b32 v127, v21 offset:32704                         // 000000009B3C: D86C7FC0 7F000015
	ds_read_b32 v130, v21 offset:34816                         // 000000009B44: D86C8800 82000015
	ds_read_b32 v131, v21 offset:34880                         // 000000009B4C: D86C8840 83000015
	ds_read_b32 v134, v21 offset:36992                         // 000000009B54: D86C9080 86000015
	ds_read_b32 v135, v21 offset:37056                         // 000000009B5C: D86C90C0 87000015
	ds_read_b32 v138, v21 offset:39168                         // 000000009B64: D86C9900 8A000015
	ds_read_b32 v139, v21 offset:39232                         // 000000009B6C: D86C9940 8B000015
	ds_read_b32 v142, v21 offset:41344                         // 000000009B74: D86CA180 8E000015
	ds_read_b32 v143, v21 offset:41408                         // 000000009B7C: D86CA1C0 8F000015
	s_waitcnt lgkmcnt(0)                                       // 000000009B84: BF8CC07F
	v_mov_b32_e32 v7, 0                                        // 000000009B88: 7E0E0280
	s_mov_b64 exec, s[36:37]                                   // 000000009B8C: BEFE0124
	v_mov_b32_e32 v6, v50                                      // 000000009B90: 7E0C0332
	s_mov_b64 s[60:61], 0                                      // 000000009B94: BEBC0180
	v_readlane_b32 s82, v3, 0                                  // 000000009B98: D2890052 00010103
	s_and_b32 s82, s82, 0xffffff                               // 000000009BA0: 8652FF52 00FFFFFF
	s_cmp_lt_u32 s82, s66                                      // 000000009BA8: BF0A4252
	s_cselect_b32 s20, s36, s60                                // 000000009BAC: 85143C24
	v_readlane_b32 s82, v3, 1                                  // 000000009BB0: D2890052 00010303
	s_and_b32 s82, s82, 0xffffff                               // 000000009BB8: 8652FF52 00FFFFFF
	s_cmp_lt_u32 s82, s66                                      // 000000009BC0: BF0A4252
	s_cselect_b32 s21, s36, s60                                // 000000009BC4: 85153C24
	s_mov_b64 exec, s[20:21]                                   // 000000009BC8: BEFE0114
	global_atomic_add_f32 v6, v66, s[8:9] offset:8             // 000000009BCC: DD348008 00084206
	global_atomic_add_f32 v6, v70, s[8:9] offset:264           // 000000009BD4: DD348108 00084606
	global_atomic_add_f32 v6, v74, s[8:9] offset:520           // 000000009BDC: DD348208 00084A06
	global_atomic_add_f32 v6, v78, s[8:9] offset:776           // 000000009BE4: DD348308 00084E06
	s_mov_b64 exec, s[36:37]                                   // 000000009BEC: BEFE0124
	v_mov_b32_e32 v6, v51                                      // 000000009BF0: 7E0C0333
	s_mov_b64 s[60:61], 0                                      // 000000009BF4: BEBC0180
	v_readlane_b32 s82, v3, 2                                  // 000000009BF8: D2890052 00010503
	s_and_b32 s82, s82, 0xffffff                               // 000000009C00: 8652FF52 00FFFFFF
	s_cmp_lt_u32 s82, s66                                      // 000000009C08: BF0A4252
	s_cselect_b32 s20, s36, s60                                // 000000009C0C: 85143C24
	v_readlane_b32 s82, v3, 3                                  // 000000009C10: D2890052 00010703
	s_and_b32 s82, s82, 0xffffff                               // 000000009C18: 8652FF52 00FFFFFF
	s_cmp_lt_u32 s82, s66                                      // 000000009C20: BF0A4252
	s_cselect_b32 s21, s36, s60                                // 000000009C24: 85153C24
	s_mov_b64 exec, s[20:21]                                   // 000000009C28: BEFE0114
	global_atomic_add_f32 v6, v67, s[8:9] offset:8             // 000000009C2C: DD348008 00084306
	global_atomic_add_f32 v6, v71, s[8:9] offset:264           // 000000009C34: DD348108 00084706
	global_atomic_add_f32 v6, v75, s[8:9] offset:520           // 000000009C3C: DD348208 00084B06
	global_atomic_add_f32 v6, v79, s[8:9] offset:776           // 000000009C44: DD348308 00084F06
	s_mov_b64 exec, s[36:37]                                   // 000000009C4C: BEFE0124
	v_mov_b32_e32 v6, v52                                      // 000000009C50: 7E0C0334
	s_mov_b64 s[60:61], 0                                      // 000000009C54: BEBC0180
	v_readlane_b32 s82, v3, 4                                  // 000000009C58: D2890052 00010903
	s_and_b32 s82, s82, 0xffffff                               // 000000009C60: 8652FF52 00FFFFFF
	s_cmp_lt_u32 s82, s66                                      // 000000009C68: BF0A4252
	s_cselect_b32 s20, s36, s60                                // 000000009C6C: 85143C24
	v_readlane_b32 s82, v3, 5                                  // 000000009C70: D2890052 00010B03
	s_and_b32 s82, s82, 0xffffff                               // 000000009C78: 8652FF52 00FFFFFF
	s_cmp_lt_u32 s82, s66                                      // 000000009C80: BF0A4252
	s_cselect_b32 s21, s36, s60                                // 000000009C84: 85153C24
	s_mov_b64 exec, s[20:21]                                   // 000000009C88: BEFE0114
	global_atomic_add_f32 v6, v82, s[8:9] offset:8             // 000000009C8C: DD348008 00085206
	global_atomic_add_f32 v6, v86, s[8:9] offset:264           // 000000009C94: DD348108 00085606
	global_atomic_add_f32 v6, v90, s[8:9] offset:520           // 000000009C9C: DD348208 00085A06
	global_atomic_add_f32 v6, v94, s[8:9] offset:776           // 000000009CA4: DD348308 00085E06
	s_mov_b64 exec, s[36:37]                                   // 000000009CAC: BEFE0124
	v_mov_b32_e32 v6, v53                                      // 000000009CB0: 7E0C0335
	s_mov_b64 s[60:61], 0                                      // 000000009CB4: BEBC0180
	v_readlane_b32 s82, v3, 6                                  // 000000009CB8: D2890052 00010D03
	s_and_b32 s82, s82, 0xffffff                               // 000000009CC0: 8652FF52 00FFFFFF
	s_cmp_lt_u32 s82, s66                                      // 000000009CC8: BF0A4252
	s_cselect_b32 s20, s36, s60                                // 000000009CCC: 85143C24
	v_readlane_b32 s82, v3, 7                                  // 000000009CD0: D2890052 00010F03
	s_and_b32 s82, s82, 0xffffff                               // 000000009CD8: 8652FF52 00FFFFFF
	s_cmp_lt_u32 s82, s66                                      // 000000009CE0: BF0A4252
	s_cselect_b32 s21, s36, s60                                // 000000009CE4: 85153C24
	s_mov_b64 exec, s[20:21]                                   // 000000009CE8: BEFE0114
	global_atomic_add_f32 v6, v83, s[8:9] offset:8             // 000000009CEC: DD348008 00085306
	global_atomic_add_f32 v6, v87, s[8:9] offset:264           // 000000009CF4: DD348108 00085706
	global_atomic_add_f32 v6, v91, s[8:9] offset:520           // 000000009CFC: DD348208 00085B06
	global_atomic_add_f32 v6, v95, s[8:9] offset:776           // 000000009D04: DD348308 00085F06
	s_mov_b64 exec, s[36:37]                                   // 000000009D0C: BEFE0124
	v_mov_b32_e32 v6, v54                                      // 000000009D10: 7E0C0336
	s_mov_b64 s[60:61], 0                                      // 000000009D14: BEBC0180
	v_readlane_b32 s82, v3, 8                                  // 000000009D18: D2890052 00011103
	s_and_b32 s82, s82, 0xffffff                               // 000000009D20: 8652FF52 00FFFFFF
	s_cmp_lt_u32 s82, s66                                      // 000000009D28: BF0A4252
	s_cselect_b32 s20, s36, s60                                // 000000009D2C: 85143C24
	v_readlane_b32 s82, v3, 9                                  // 000000009D30: D2890052 00011303
	s_and_b32 s82, s82, 0xffffff                               // 000000009D38: 8652FF52 00FFFFFF
	s_cmp_lt_u32 s82, s66                                      // 000000009D40: BF0A4252
	s_cselect_b32 s21, s36, s60                                // 000000009D44: 85153C24
	s_mov_b64 exec, s[20:21]                                   // 000000009D48: BEFE0114
	global_atomic_add_f32 v6, v98, s[8:9] offset:8             // 000000009D4C: DD348008 00086206
	global_atomic_add_f32 v6, v102, s[8:9] offset:264          // 000000009D54: DD348108 00086606
	global_atomic_add_f32 v6, v106, s[8:9] offset:520          // 000000009D5C: DD348208 00086A06
	global_atomic_add_f32 v6, v110, s[8:9] offset:776          // 000000009D64: DD348308 00086E06
	s_mov_b64 exec, s[36:37]                                   // 000000009D6C: BEFE0124
	v_mov_b32_e32 v6, v55                                      // 000000009D70: 7E0C0337
	s_mov_b64 s[60:61], 0                                      // 000000009D74: BEBC0180
	v_readlane_b32 s82, v3, 10                                 // 000000009D78: D2890052 00011503
	s_and_b32 s82, s82, 0xffffff                               // 000000009D80: 8652FF52 00FFFFFF
	s_cmp_lt_u32 s82, s66                                      // 000000009D88: BF0A4252
	s_cselect_b32 s20, s36, s60                                // 000000009D8C: 85143C24
	v_readlane_b32 s82, v3, 11                                 // 000000009D90: D2890052 00011703
	s_and_b32 s82, s82, 0xffffff                               // 000000009D98: 8652FF52 00FFFFFF
	s_cmp_lt_u32 s82, s66                                      // 000000009DA0: BF0A4252
	s_cselect_b32 s21, s36, s60                                // 000000009DA4: 85153C24
	s_mov_b64 exec, s[20:21]                                   // 000000009DA8: BEFE0114
	global_atomic_add_f32 v6, v99, s[8:9] offset:8             // 000000009DAC: DD348008 00086306
	global_atomic_add_f32 v6, v103, s[8:9] offset:264          // 000000009DB4: DD348108 00086706
	global_atomic_add_f32 v6, v107, s[8:9] offset:520          // 000000009DBC: DD348208 00086B06
	global_atomic_add_f32 v6, v111, s[8:9] offset:776          // 000000009DC4: DD348308 00086F06
	s_mov_b64 exec, s[36:37]                                   // 000000009DCC: BEFE0124
	v_mov_b32_e32 v6, v56                                      // 000000009DD0: 7E0C0338
	s_mov_b64 s[60:61], 0                                      // 000000009DD4: BEBC0180
	v_readlane_b32 s82, v3, 12                                 // 000000009DD8: D2890052 00011903
	s_and_b32 s82, s82, 0xffffff                               // 000000009DE0: 8652FF52 00FFFFFF
	s_cmp_lt_u32 s82, s66                                      // 000000009DE8: BF0A4252
	s_cselect_b32 s20, s36, s60                                // 000000009DEC: 85143C24
	v_readlane_b32 s82, v3, 13                                 // 000000009DF0: D2890052 00011B03
	s_and_b32 s82, s82, 0xffffff                               // 000000009DF8: 8652FF52 00FFFFFF
	s_cmp_lt_u32 s82, s66                                      // 000000009E00: BF0A4252
	s_cselect_b32 s21, s36, s60                                // 000000009E04: 85153C24
	s_mov_b64 exec, s[20:21]                                   // 000000009E08: BEFE0114
	global_atomic_add_f32 v6, v114, s[8:9] offset:8            // 000000009E0C: DD348008 00087206
	global_atomic_add_f32 v6, v118, s[8:9] offset:264          // 000000009E14: DD348108 00087606
	global_atomic_add_f32 v6, v122, s[8:9] offset:520          // 000000009E1C: DD348208 00087A06
	global_atomic_add_f32 v6, v126, s[8:9] offset:776          // 000000009E24: DD348308 00087E06
	s_mov_b64 exec, s[36:37]                                   // 000000009E2C: BEFE0124
	v_mov_b32_e32 v6, v57                                      // 000000009E30: 7E0C0339
	s_mov_b64 s[60:61], 0                                      // 000000009E34: BEBC0180
	v_readlane_b32 s82, v3, 14                                 // 000000009E38: D2890052 00011D03
	s_and_b32 s82, s82, 0xffffff                               // 000000009E40: 8652FF52 00FFFFFF
	s_cmp_lt_u32 s82, s66                                      // 000000009E48: BF0A4252
	s_cselect_b32 s20, s36, s60                                // 000000009E4C: 85143C24
	v_readlane_b32 s82, v3, 15                                 // 000000009E50: D2890052 00011F03
	s_and_b32 s82, s82, 0xffffff                               // 000000009E58: 8652FF52 00FFFFFF
	s_cmp_lt_u32 s82, s66                                      // 000000009E60: BF0A4252
	s_cselect_b32 s21, s36, s60                                // 000000009E64: 85153C24
	s_mov_b64 exec, s[20:21]                                   // 000000009E68: BEFE0114
	global_atomic_add_f32 v6, v115, s[8:9] offset:8            // 000000009E6C: DD348008 00087306
	global_atomic_add_f32 v6, v119, s[8:9] offset:264          // 000000009E74: DD348108 00087706
	global_atomic_add_f32 v6, v123, s[8:9] offset:520          // 000000009E7C: DD348208 00087B06
	global_atomic_add_f32 v6, v127, s[8:9] offset:776          // 000000009E84: DD348308 00087F06
	s_mov_b64 exec, s[36:37]                                   // 000000009E8C: BEFE0124
	v_mov_b32_e32 v6, v58                                      // 000000009E90: 7E0C033A
	s_mov_b64 s[60:61], 0                                      // 000000009E94: BEBC0180
	v_readlane_b32 s82, v3, 16                                 // 000000009E98: D2890052 00012103
	s_and_b32 s82, s82, 0xffffff                               // 000000009EA0: 8652FF52 00FFFFFF
	s_cmp_lt_u32 s82, s66                                      // 000000009EA8: BF0A4252
	s_cselect_b32 s20, s36, s60                                // 000000009EAC: 85143C24
	v_readlane_b32 s82, v3, 17                                 // 000000009EB0: D2890052 00012303
	s_and_b32 s82, s82, 0xffffff                               // 000000009EB8: 8652FF52 00FFFFFF
	s_cmp_lt_u32 s82, s66                                      // 000000009EC0: BF0A4252
	s_cselect_b32 s21, s36, s60                                // 000000009EC4: 85153C24
	s_mov_b64 exec, s[20:21]                                   // 000000009EC8: BEFE0114
	global_atomic_add_f32 v6, v130, s[8:9] offset:8            // 000000009ECC: DD348008 00088206
	global_atomic_add_f32 v6, v134, s[8:9] offset:264          // 000000009ED4: DD348108 00088606
	global_atomic_add_f32 v6, v138, s[8:9] offset:520          // 000000009EDC: DD348208 00088A06
	global_atomic_add_f32 v6, v142, s[8:9] offset:776          // 000000009EE4: DD348308 00088E06
	s_mov_b64 exec, s[36:37]                                   // 000000009EEC: BEFE0124
	v_mov_b32_e32 v6, v59                                      // 000000009EF0: 7E0C033B
	s_mov_b64 s[60:61], 0                                      // 000000009EF4: BEBC0180
	v_readlane_b32 s82, v3, 18                                 // 000000009EF8: D2890052 00012503
	s_and_b32 s82, s82, 0xffffff                               // 000000009F00: 8652FF52 00FFFFFF
	s_cmp_lt_u32 s82, s66                                      // 000000009F08: BF0A4252
	s_cselect_b32 s20, s36, s60                                // 000000009F0C: 85143C24
	v_readlane_b32 s82, v3, 19                                 // 000000009F10: D2890052 00012703
	s_and_b32 s82, s82, 0xffffff                               // 000000009F18: 8652FF52 00FFFFFF
	s_cmp_lt_u32 s82, s66                                      // 000000009F20: BF0A4252
	s_cselect_b32 s21, s36, s60                                // 000000009F24: 85153C24
	s_mov_b64 exec, s[20:21]                                   // 000000009F28: BEFE0114
	global_atomic_add_f32 v6, v131, s[8:9] offset:8            // 000000009F2C: DD348008 00088306
	global_atomic_add_f32 v6, v135, s[8:9] offset:264          // 000000009F34: DD348108 00088706
	global_atomic_add_f32 v6, v139, s[8:9] offset:520          // 000000009F3C: DD348208 00088B06
	global_atomic_add_f32 v6, v143, s[8:9] offset:776          // 000000009F44: DD348308 00088F06
	s_mov_b64 exec, s[36:37]                                   // 000000009F4C: BEFE0124
	ds_write_b64 v20, v[144:145]                               // 000000009F50: D89A0000 00009014
	ds_write_b64 v20, v[148:149] offset:8704                   // 000000009F58: D89A2200 00009414
	ds_write_b64 v20, v[152:153] offset:17408                  // 000000009F60: D89A4400 00009814
	ds_write_b64 v20, v[156:157] offset:26112                  // 000000009F68: D89A6600 00009C14
	ds_write_b64 v20, v[160:161] offset:34816                  // 000000009F70: D89A8800 0000A014
	ds_write_b64 v20, v[164:165] offset:2176                   // 000000009F78: D89A0880 0000A414
	ds_write_b64 v20, v[168:169] offset:10880                  // 000000009F80: D89A2A80 0000A814
	ds_write_b64 v20, v[172:173] offset:19584                  // 000000009F88: D89A4C80 0000AC14
	ds_write_b64 v20, v[176:177] offset:28288                  // 000000009F90: D89A6E80 0000B014
	ds_write_b64 v20, v[180:181] offset:36992                  // 000000009F98: D89A9080 0000B414
	ds_write_b64 v20, v[184:185] offset:4352                   // 000000009FA0: D89A1100 0000B814
	ds_write_b64 v20, v[188:189] offset:13056                  // 000000009FA8: D89A3300 0000BC14
	ds_write_b64 v20, v[192:193] offset:21760                  // 000000009FB0: D89A5500 0000C014
	ds_write_b64 v20, v[196:197] offset:30464                  // 000000009FB8: D89A7700 0000C414
	ds_write_b64 v20, v[200:201] offset:39168                  // 000000009FC0: D89A9900 0000C814
	ds_write_b64 v20, v[204:205] offset:6528                   // 000000009FC8: D89A1980 0000CC14
	ds_write_b64 v20, v[208:209] offset:15232                  // 000000009FD0: D89A3B80 0000D014
	ds_write_b64 v20, v[212:213] offset:23936                  // 000000009FD8: D89A5D80 0000D414
	ds_write_b64 v20, v[216:217] offset:32640                  // 000000009FE0: D89A7F80 0000D814
	ds_write_b64 v20, v[220:221] offset:41344                  // 000000009FE8: D89AA180 0000DC14
	s_waitcnt lgkmcnt(0)                                       // 000000009FF0: BF8CC07F
	s_barrier                                                  // 000000009FF4: BF8A0000
	ds_read_b32 v144, v21                                      // 000000009FF8: D86C0000 90000015
	ds_read_b32 v145, v21 offset:64                            // 00000000A000: D86C0040 91000015
	ds_read_b32 v148, v21 offset:2176                          // 00000000A008: D86C0880 94000015
	ds_read_b32 v149, v21 offset:2240                          // 00000000A010: D86C08C0 95000015
	ds_read_b32 v152, v21 offset:4352                          // 00000000A018: D86C1100 98000015
	ds_read_b32 v153, v21 offset:4416                          // 00000000A020: D86C1140 99000015
	ds_read_b32 v156, v21 offset:6528                          // 00000000A028: D86C1980 9C000015
	ds_read_b32 v157, v21 offset:6592                          // 00000000A030: D86C19C0 9D000015
	ds_read_b32 v160, v21 offset:8704                          // 00000000A038: D86C2200 A0000015
	ds_read_b32 v161, v21 offset:8768                          // 00000000A040: D86C2240 A1000015
	ds_read_b32 v164, v21 offset:10880                         // 00000000A048: D86C2A80 A4000015
	ds_read_b32 v165, v21 offset:10944                         // 00000000A050: D86C2AC0 A5000015
	ds_read_b32 v168, v21 offset:13056                         // 00000000A058: D86C3300 A8000015
	ds_read_b32 v169, v21 offset:13120                         // 00000000A060: D86C3340 A9000015
	ds_read_b32 v172, v21 offset:15232                         // 00000000A068: D86C3B80 AC000015
	ds_read_b32 v173, v21 offset:15296                         // 00000000A070: D86C3BC0 AD000015
	ds_read_b32 v176, v21 offset:17408                         // 00000000A078: D86C4400 B0000015
	ds_read_b32 v177, v21 offset:17472                         // 00000000A080: D86C4440 B1000015
	ds_read_b32 v180, v21 offset:19584                         // 00000000A088: D86C4C80 B4000015
	ds_read_b32 v181, v21 offset:19648                         // 00000000A090: D86C4CC0 B5000015
	ds_read_b32 v184, v21 offset:21760                         // 00000000A098: D86C5500 B8000015
	ds_read_b32 v185, v21 offset:21824                         // 00000000A0A0: D86C5540 B9000015
	ds_read_b32 v188, v21 offset:23936                         // 00000000A0A8: D86C5D80 BC000015
	ds_read_b32 v189, v21 offset:24000                         // 00000000A0B0: D86C5DC0 BD000015
	ds_read_b32 v192, v21 offset:26112                         // 00000000A0B8: D86C6600 C0000015
	ds_read_b32 v193, v21 offset:26176                         // 00000000A0C0: D86C6640 C1000015
	ds_read_b32 v196, v21 offset:28288                         // 00000000A0C8: D86C6E80 C4000015
	ds_read_b32 v197, v21 offset:28352                         // 00000000A0D0: D86C6EC0 C5000015
	ds_read_b32 v200, v21 offset:30464                         // 00000000A0D8: D86C7700 C8000015
	ds_read_b32 v201, v21 offset:30528                         // 00000000A0E0: D86C7740 C9000015
	ds_read_b32 v204, v21 offset:32640                         // 00000000A0E8: D86C7F80 CC000015
	ds_read_b32 v205, v21 offset:32704                         // 00000000A0F0: D86C7FC0 CD000015
	ds_read_b32 v208, v21 offset:34816                         // 00000000A0F8: D86C8800 D0000015
	ds_read_b32 v209, v21 offset:34880                         // 00000000A100: D86C8840 D1000015
	ds_read_b32 v212, v21 offset:36992                         // 00000000A108: D86C9080 D4000015
	ds_read_b32 v213, v21 offset:37056                         // 00000000A110: D86C90C0 D5000015
	ds_read_b32 v216, v21 offset:39168                         // 00000000A118: D86C9900 D8000015
	ds_read_b32 v217, v21 offset:39232                         // 00000000A120: D86C9940 D9000015
	ds_read_b32 v220, v21 offset:41344                         // 00000000A128: D86CA180 DC000015
	ds_read_b32 v221, v21 offset:41408                         // 00000000A130: D86CA1C0 DD000015
	s_mul_i32 s60, s65, 4                                      // 00000000A138: 923C8441
	s_add_u32 s8, s60, s8                                      // 00000000A13C: 8008083C
	s_addc_u32 s9, 0, s9                                       // 00000000A140: 82090980
	s_waitcnt lgkmcnt(0)                                       // 00000000A144: BF8CC07F
	v_mov_b32_e32 v7, 0                                        // 00000000A148: 7E0E0280
	s_mov_b64 exec, s[36:37]                                   // 00000000A14C: BEFE0124
	v_mov_b32_e32 v6, v50                                      // 00000000A150: 7E0C0332
	s_mov_b64 s[60:61], 0                                      // 00000000A154: BEBC0180
	v_readlane_b32 s82, v3, 0                                  // 00000000A158: D2890052 00010103
	s_and_b32 s82, s82, 0xffffff                               // 00000000A160: 8652FF52 00FFFFFF
	s_cmp_lt_u32 s82, s66                                      // 00000000A168: BF0A4252
	s_cselect_b32 s20, s36, s60                                // 00000000A16C: 85143C24
	v_readlane_b32 s82, v3, 1                                  // 00000000A170: D2890052 00010303
	s_and_b32 s82, s82, 0xffffff                               // 00000000A178: 8652FF52 00FFFFFF
	s_cmp_lt_u32 s82, s66                                      // 00000000A180: BF0A4252
	s_cselect_b32 s21, s36, s60                                // 00000000A184: 85153C24
	s_mov_b64 exec, s[20:21]                                   // 00000000A188: BEFE0114
	global_atomic_add_f32 v6, v144, s[8:9]                     // 00000000A18C: DD348000 00089006
	global_atomic_add_f32 v6, v148, s[8:9] offset:256          // 00000000A194: DD348100 00089406
	global_atomic_add_f32 v6, v152, s[8:9] offset:512          // 00000000A19C: DD348200 00089806
	global_atomic_add_f32 v6, v156, s[8:9] offset:768          // 00000000A1A4: DD348300 00089C06
	s_mov_b64 exec, s[36:37]                                   // 00000000A1AC: BEFE0124
	v_mov_b32_e32 v6, v51                                      // 00000000A1B0: 7E0C0333
	s_mov_b64 s[60:61], 0                                      // 00000000A1B4: BEBC0180
	v_readlane_b32 s82, v3, 2                                  // 00000000A1B8: D2890052 00010503
	s_and_b32 s82, s82, 0xffffff                               // 00000000A1C0: 8652FF52 00FFFFFF
	s_cmp_lt_u32 s82, s66                                      // 00000000A1C8: BF0A4252
	s_cselect_b32 s20, s36, s60                                // 00000000A1CC: 85143C24
	v_readlane_b32 s82, v3, 3                                  // 00000000A1D0: D2890052 00010703
	s_and_b32 s82, s82, 0xffffff                               // 00000000A1D8: 8652FF52 00FFFFFF
	s_cmp_lt_u32 s82, s66                                      // 00000000A1E0: BF0A4252
	s_cselect_b32 s21, s36, s60                                // 00000000A1E4: 85153C24
	s_mov_b64 exec, s[20:21]                                   // 00000000A1E8: BEFE0114
	global_atomic_add_f32 v6, v145, s[8:9]                     // 00000000A1EC: DD348000 00089106
	global_atomic_add_f32 v6, v149, s[8:9] offset:256          // 00000000A1F4: DD348100 00089506
	global_atomic_add_f32 v6, v153, s[8:9] offset:512          // 00000000A1FC: DD348200 00089906
	global_atomic_add_f32 v6, v157, s[8:9] offset:768          // 00000000A204: DD348300 00089D06
	s_mov_b64 exec, s[36:37]                                   // 00000000A20C: BEFE0124
	v_mov_b32_e32 v6, v52                                      // 00000000A210: 7E0C0334
	s_mov_b64 s[60:61], 0                                      // 00000000A214: BEBC0180
	v_readlane_b32 s82, v3, 4                                  // 00000000A218: D2890052 00010903
	s_and_b32 s82, s82, 0xffffff                               // 00000000A220: 8652FF52 00FFFFFF
	s_cmp_lt_u32 s82, s66                                      // 00000000A228: BF0A4252
	s_cselect_b32 s20, s36, s60                                // 00000000A22C: 85143C24
	v_readlane_b32 s82, v3, 5                                  // 00000000A230: D2890052 00010B03
	s_and_b32 s82, s82, 0xffffff                               // 00000000A238: 8652FF52 00FFFFFF
	s_cmp_lt_u32 s82, s66                                      // 00000000A240: BF0A4252
	s_cselect_b32 s21, s36, s60                                // 00000000A244: 85153C24
	s_mov_b64 exec, s[20:21]                                   // 00000000A248: BEFE0114
	global_atomic_add_f32 v6, v160, s[8:9]                     // 00000000A24C: DD348000 0008A006
	global_atomic_add_f32 v6, v164, s[8:9] offset:256          // 00000000A254: DD348100 0008A406
	global_atomic_add_f32 v6, v168, s[8:9] offset:512          // 00000000A25C: DD348200 0008A806
	global_atomic_add_f32 v6, v172, s[8:9] offset:768          // 00000000A264: DD348300 0008AC06
	s_mov_b64 exec, s[36:37]                                   // 00000000A26C: BEFE0124
	v_mov_b32_e32 v6, v53                                      // 00000000A270: 7E0C0335
	s_mov_b64 s[60:61], 0                                      // 00000000A274: BEBC0180
	v_readlane_b32 s82, v3, 6                                  // 00000000A278: D2890052 00010D03
	s_and_b32 s82, s82, 0xffffff                               // 00000000A280: 8652FF52 00FFFFFF
	s_cmp_lt_u32 s82, s66                                      // 00000000A288: BF0A4252
	s_cselect_b32 s20, s36, s60                                // 00000000A28C: 85143C24
	v_readlane_b32 s82, v3, 7                                  // 00000000A290: D2890052 00010F03
	s_and_b32 s82, s82, 0xffffff                               // 00000000A298: 8652FF52 00FFFFFF
	s_cmp_lt_u32 s82, s66                                      // 00000000A2A0: BF0A4252
	s_cselect_b32 s21, s36, s60                                // 00000000A2A4: 85153C24
	s_mov_b64 exec, s[20:21]                                   // 00000000A2A8: BEFE0114
	global_atomic_add_f32 v6, v161, s[8:9]                     // 00000000A2AC: DD348000 0008A106
	global_atomic_add_f32 v6, v165, s[8:9] offset:256          // 00000000A2B4: DD348100 0008A506
	global_atomic_add_f32 v6, v169, s[8:9] offset:512          // 00000000A2BC: DD348200 0008A906
	global_atomic_add_f32 v6, v173, s[8:9] offset:768          // 00000000A2C4: DD348300 0008AD06
	s_mov_b64 exec, s[36:37]                                   // 00000000A2CC: BEFE0124
	v_mov_b32_e32 v6, v54                                      // 00000000A2D0: 7E0C0336
	s_mov_b64 s[60:61], 0                                      // 00000000A2D4: BEBC0180
	v_readlane_b32 s82, v3, 8                                  // 00000000A2D8: D2890052 00011103
	s_and_b32 s82, s82, 0xffffff                               // 00000000A2E0: 8652FF52 00FFFFFF
	s_cmp_lt_u32 s82, s66                                      // 00000000A2E8: BF0A4252
	s_cselect_b32 s20, s36, s60                                // 00000000A2EC: 85143C24
	v_readlane_b32 s82, v3, 9                                  // 00000000A2F0: D2890052 00011303
	s_and_b32 s82, s82, 0xffffff                               // 00000000A2F8: 8652FF52 00FFFFFF
	s_cmp_lt_u32 s82, s66                                      // 00000000A300: BF0A4252
	s_cselect_b32 s21, s36, s60                                // 00000000A304: 85153C24
	s_mov_b64 exec, s[20:21]                                   // 00000000A308: BEFE0114
	global_atomic_add_f32 v6, v176, s[8:9]                     // 00000000A30C: DD348000 0008B006
	global_atomic_add_f32 v6, v180, s[8:9] offset:256          // 00000000A314: DD348100 0008B406
	global_atomic_add_f32 v6, v184, s[8:9] offset:512          // 00000000A31C: DD348200 0008B806
	global_atomic_add_f32 v6, v188, s[8:9] offset:768          // 00000000A324: DD348300 0008BC06
	s_mov_b64 exec, s[36:37]                                   // 00000000A32C: BEFE0124
	v_mov_b32_e32 v6, v55                                      // 00000000A330: 7E0C0337
	s_mov_b64 s[60:61], 0                                      // 00000000A334: BEBC0180
	v_readlane_b32 s82, v3, 10                                 // 00000000A338: D2890052 00011503
	s_and_b32 s82, s82, 0xffffff                               // 00000000A340: 8652FF52 00FFFFFF
	s_cmp_lt_u32 s82, s66                                      // 00000000A348: BF0A4252
	s_cselect_b32 s20, s36, s60                                // 00000000A34C: 85143C24
	v_readlane_b32 s82, v3, 11                                 // 00000000A350: D2890052 00011703
	s_and_b32 s82, s82, 0xffffff                               // 00000000A358: 8652FF52 00FFFFFF
	s_cmp_lt_u32 s82, s66                                      // 00000000A360: BF0A4252
	s_cselect_b32 s21, s36, s60                                // 00000000A364: 85153C24
	s_mov_b64 exec, s[20:21]                                   // 00000000A368: BEFE0114
	global_atomic_add_f32 v6, v177, s[8:9]                     // 00000000A36C: DD348000 0008B106
	global_atomic_add_f32 v6, v181, s[8:9] offset:256          // 00000000A374: DD348100 0008B506
	global_atomic_add_f32 v6, v185, s[8:9] offset:512          // 00000000A37C: DD348200 0008B906
	global_atomic_add_f32 v6, v189, s[8:9] offset:768          // 00000000A384: DD348300 0008BD06
	s_mov_b64 exec, s[36:37]                                   // 00000000A38C: BEFE0124
	v_mov_b32_e32 v6, v56                                      // 00000000A390: 7E0C0338
	s_mov_b64 s[60:61], 0                                      // 00000000A394: BEBC0180
	v_readlane_b32 s82, v3, 12                                 // 00000000A398: D2890052 00011903
	s_and_b32 s82, s82, 0xffffff                               // 00000000A3A0: 8652FF52 00FFFFFF
	s_cmp_lt_u32 s82, s66                                      // 00000000A3A8: BF0A4252
	s_cselect_b32 s20, s36, s60                                // 00000000A3AC: 85143C24
	v_readlane_b32 s82, v3, 13                                 // 00000000A3B0: D2890052 00011B03
	s_and_b32 s82, s82, 0xffffff                               // 00000000A3B8: 8652FF52 00FFFFFF
	s_cmp_lt_u32 s82, s66                                      // 00000000A3C0: BF0A4252
	s_cselect_b32 s21, s36, s60                                // 00000000A3C4: 85153C24
	s_mov_b64 exec, s[20:21]                                   // 00000000A3C8: BEFE0114
	global_atomic_add_f32 v6, v192, s[8:9]                     // 00000000A3CC: DD348000 0008C006
	global_atomic_add_f32 v6, v196, s[8:9] offset:256          // 00000000A3D4: DD348100 0008C406
	global_atomic_add_f32 v6, v200, s[8:9] offset:512          // 00000000A3DC: DD348200 0008C806
	global_atomic_add_f32 v6, v204, s[8:9] offset:768          // 00000000A3E4: DD348300 0008CC06
	s_mov_b64 exec, s[36:37]                                   // 00000000A3EC: BEFE0124
	v_mov_b32_e32 v6, v57                                      // 00000000A3F0: 7E0C0339
	s_mov_b64 s[60:61], 0                                      // 00000000A3F4: BEBC0180
	v_readlane_b32 s82, v3, 14                                 // 00000000A3F8: D2890052 00011D03
	s_and_b32 s82, s82, 0xffffff                               // 00000000A400: 8652FF52 00FFFFFF
	s_cmp_lt_u32 s82, s66                                      // 00000000A408: BF0A4252
	s_cselect_b32 s20, s36, s60                                // 00000000A40C: 85143C24
	v_readlane_b32 s82, v3, 15                                 // 00000000A410: D2890052 00011F03
	s_and_b32 s82, s82, 0xffffff                               // 00000000A418: 8652FF52 00FFFFFF
	s_cmp_lt_u32 s82, s66                                      // 00000000A420: BF0A4252
	s_cselect_b32 s21, s36, s60                                // 00000000A424: 85153C24
	s_mov_b64 exec, s[20:21]                                   // 00000000A428: BEFE0114
	global_atomic_add_f32 v6, v193, s[8:9]                     // 00000000A42C: DD348000 0008C106
	global_atomic_add_f32 v6, v197, s[8:9] offset:256          // 00000000A434: DD348100 0008C506
	global_atomic_add_f32 v6, v201, s[8:9] offset:512          // 00000000A43C: DD348200 0008C906
	global_atomic_add_f32 v6, v205, s[8:9] offset:768          // 00000000A444: DD348300 0008CD06
	s_mov_b64 exec, s[36:37]                                   // 00000000A44C: BEFE0124
	v_mov_b32_e32 v6, v58                                      // 00000000A450: 7E0C033A
	s_mov_b64 s[60:61], 0                                      // 00000000A454: BEBC0180
	v_readlane_b32 s82, v3, 16                                 // 00000000A458: D2890052 00012103
	s_and_b32 s82, s82, 0xffffff                               // 00000000A460: 8652FF52 00FFFFFF
	s_cmp_lt_u32 s82, s66                                      // 00000000A468: BF0A4252
	s_cselect_b32 s20, s36, s60                                // 00000000A46C: 85143C24
	v_readlane_b32 s82, v3, 17                                 // 00000000A470: D2890052 00012303
	s_and_b32 s82, s82, 0xffffff                               // 00000000A478: 8652FF52 00FFFFFF
	s_cmp_lt_u32 s82, s66                                      // 00000000A480: BF0A4252
	s_cselect_b32 s21, s36, s60                                // 00000000A484: 85153C24
	s_mov_b64 exec, s[20:21]                                   // 00000000A488: BEFE0114
	global_atomic_add_f32 v6, v208, s[8:9]                     // 00000000A48C: DD348000 0008D006
	global_atomic_add_f32 v6, v212, s[8:9] offset:256          // 00000000A494: DD348100 0008D406
	global_atomic_add_f32 v6, v216, s[8:9] offset:512          // 00000000A49C: DD348200 0008D806
	global_atomic_add_f32 v6, v220, s[8:9] offset:768          // 00000000A4A4: DD348300 0008DC06
	s_mov_b64 exec, s[36:37]                                   // 00000000A4AC: BEFE0124
	v_mov_b32_e32 v6, v59                                      // 00000000A4B0: 7E0C033B
	s_mov_b64 s[60:61], 0                                      // 00000000A4B4: BEBC0180
	v_readlane_b32 s82, v3, 18                                 // 00000000A4B8: D2890052 00012503
	s_and_b32 s82, s82, 0xffffff                               // 00000000A4C0: 8652FF52 00FFFFFF
	s_cmp_lt_u32 s82, s66                                      // 00000000A4C8: BF0A4252
	s_cselect_b32 s20, s36, s60                                // 00000000A4CC: 85143C24
	v_readlane_b32 s82, v3, 19                                 // 00000000A4D0: D2890052 00012703
	s_and_b32 s82, s82, 0xffffff                               // 00000000A4D8: 8652FF52 00FFFFFF
	s_cmp_lt_u32 s82, s66                                      // 00000000A4E0: BF0A4252
	s_cselect_b32 s21, s36, s60                                // 00000000A4E4: 85153C24
	s_mov_b64 exec, s[20:21]                                   // 00000000A4E8: BEFE0114
	global_atomic_add_f32 v6, v209, s[8:9]                     // 00000000A4EC: DD348000 0008D106
	global_atomic_add_f32 v6, v213, s[8:9] offset:256          // 00000000A4F4: DD348100 0008D506
	global_atomic_add_f32 v6, v217, s[8:9] offset:512          // 00000000A4FC: DD348200 0008D906
	global_atomic_add_f32 v6, v221, s[8:9] offset:768          // 00000000A504: DD348300 0008DD06
	s_mov_b64 exec, s[36:37]                                   // 00000000A50C: BEFE0124
	ds_write_b64 v20, v[146:147]                               // 00000000A510: D89A0000 00009214
	ds_write_b64 v20, v[150:151] offset:8704                   // 00000000A518: D89A2200 00009614
	ds_write_b64 v20, v[154:155] offset:17408                  // 00000000A520: D89A4400 00009A14
	ds_write_b64 v20, v[158:159] offset:26112                  // 00000000A528: D89A6600 00009E14
	ds_write_b64 v20, v[162:163] offset:34816                  // 00000000A530: D89A8800 0000A214
	ds_write_b64 v20, v[166:167] offset:2176                   // 00000000A538: D89A0880 0000A614
	ds_write_b64 v20, v[170:171] offset:10880                  // 00000000A540: D89A2A80 0000AA14
	ds_write_b64 v20, v[174:175] offset:19584                  // 00000000A548: D89A4C80 0000AE14
	ds_write_b64 v20, v[178:179] offset:28288                  // 00000000A550: D89A6E80 0000B214
	ds_write_b64 v20, v[182:183] offset:36992                  // 00000000A558: D89A9080 0000B614
	ds_write_b64 v20, v[186:187] offset:4352                   // 00000000A560: D89A1100 0000BA14
	ds_write_b64 v20, v[190:191] offset:13056                  // 00000000A568: D89A3300 0000BE14
	ds_write_b64 v20, v[194:195] offset:21760                  // 00000000A570: D89A5500 0000C214
	ds_write_b64 v20, v[198:199] offset:30464                  // 00000000A578: D89A7700 0000C614
	ds_write_b64 v20, v[202:203] offset:39168                  // 00000000A580: D89A9900 0000CA14
	ds_write_b64 v20, v[206:207] offset:6528                   // 00000000A588: D89A1980 0000CE14
	ds_write_b64 v20, v[210:211] offset:15232                  // 00000000A590: D89A3B80 0000D214
	ds_write_b64 v20, v[214:215] offset:23936                  // 00000000A598: D89A5D80 0000D614
	ds_write_b64 v20, v[218:219] offset:32640                  // 00000000A5A0: D89A7F80 0000DA14
	ds_write_b64 v20, v[222:223] offset:41344                  // 00000000A5A8: D89AA180 0000DE14
	s_waitcnt lgkmcnt(0)                                       // 00000000A5B0: BF8CC07F
	s_barrier                                                  // 00000000A5B4: BF8A0000
	ds_read_b32 v146, v21                                      // 00000000A5B8: D86C0000 92000015
	ds_read_b32 v147, v21 offset:64                            // 00000000A5C0: D86C0040 93000015
	ds_read_b32 v150, v21 offset:2176                          // 00000000A5C8: D86C0880 96000015
	ds_read_b32 v151, v21 offset:2240                          // 00000000A5D0: D86C08C0 97000015
	ds_read_b32 v154, v21 offset:4352                          // 00000000A5D8: D86C1100 9A000015
	ds_read_b32 v155, v21 offset:4416                          // 00000000A5E0: D86C1140 9B000015
	ds_read_b32 v158, v21 offset:6528                          // 00000000A5E8: D86C1980 9E000015
	ds_read_b32 v159, v21 offset:6592                          // 00000000A5F0: D86C19C0 9F000015
	ds_read_b32 v162, v21 offset:8704                          // 00000000A5F8: D86C2200 A2000015
	ds_read_b32 v163, v21 offset:8768                          // 00000000A600: D86C2240 A3000015
	ds_read_b32 v166, v21 offset:10880                         // 00000000A608: D86C2A80 A6000015
	ds_read_b32 v167, v21 offset:10944                         // 00000000A610: D86C2AC0 A7000015
	ds_read_b32 v170, v21 offset:13056                         // 00000000A618: D86C3300 AA000015
	ds_read_b32 v171, v21 offset:13120                         // 00000000A620: D86C3340 AB000015
	ds_read_b32 v174, v21 offset:15232                         // 00000000A628: D86C3B80 AE000015
	ds_read_b32 v175, v21 offset:15296                         // 00000000A630: D86C3BC0 AF000015
	ds_read_b32 v178, v21 offset:17408                         // 00000000A638: D86C4400 B2000015
	ds_read_b32 v179, v21 offset:17472                         // 00000000A640: D86C4440 B3000015
	ds_read_b32 v182, v21 offset:19584                         // 00000000A648: D86C4C80 B6000015
	ds_read_b32 v183, v21 offset:19648                         // 00000000A650: D86C4CC0 B7000015
	ds_read_b32 v186, v21 offset:21760                         // 00000000A658: D86C5500 BA000015
	ds_read_b32 v187, v21 offset:21824                         // 00000000A660: D86C5540 BB000015
	ds_read_b32 v190, v21 offset:23936                         // 00000000A668: D86C5D80 BE000015
	ds_read_b32 v191, v21 offset:24000                         // 00000000A670: D86C5DC0 BF000015
	ds_read_b32 v194, v21 offset:26112                         // 00000000A678: D86C6600 C2000015
	ds_read_b32 v195, v21 offset:26176                         // 00000000A680: D86C6640 C3000015
	ds_read_b32 v198, v21 offset:28288                         // 00000000A688: D86C6E80 C6000015
	ds_read_b32 v199, v21 offset:28352                         // 00000000A690: D86C6EC0 C7000015
	ds_read_b32 v202, v21 offset:30464                         // 00000000A698: D86C7700 CA000015
	ds_read_b32 v203, v21 offset:30528                         // 00000000A6A0: D86C7740 CB000015
	ds_read_b32 v206, v21 offset:32640                         // 00000000A6A8: D86C7F80 CE000015
	ds_read_b32 v207, v21 offset:32704                         // 00000000A6B0: D86C7FC0 CF000015
	ds_read_b32 v210, v21 offset:34816                         // 00000000A6B8: D86C8800 D2000015
	ds_read_b32 v211, v21 offset:34880                         // 00000000A6C0: D86C8840 D3000015
	ds_read_b32 v214, v21 offset:36992                         // 00000000A6C8: D86C9080 D6000015
	ds_read_b32 v215, v21 offset:37056                         // 00000000A6D0: D86C90C0 D7000015
	ds_read_b32 v218, v21 offset:39168                         // 00000000A6D8: D86C9900 DA000015
	ds_read_b32 v219, v21 offset:39232                         // 00000000A6E0: D86C9940 DB000015
	ds_read_b32 v222, v21 offset:41344                         // 00000000A6E8: D86CA180 DE000015
	ds_read_b32 v223, v21 offset:41408                         // 00000000A6F0: D86CA1C0 DF000015
	s_waitcnt lgkmcnt(0)                                       // 00000000A6F8: BF8CC07F
	v_mov_b32_e32 v7, 0                                        // 00000000A6FC: 7E0E0280
	s_mov_b64 exec, s[36:37]                                   // 00000000A700: BEFE0124
	v_mov_b32_e32 v6, v50                                      // 00000000A704: 7E0C0332
	s_mov_b64 s[60:61], 0                                      // 00000000A708: BEBC0180
	v_readlane_b32 s82, v3, 0                                  // 00000000A70C: D2890052 00010103
	s_and_b32 s82, s82, 0xffffff                               // 00000000A714: 8652FF52 00FFFFFF
	s_cmp_lt_u32 s82, s66                                      // 00000000A71C: BF0A4252
	s_cselect_b32 s20, s36, s60                                // 00000000A720: 85143C24
	v_readlane_b32 s82, v3, 1                                  // 00000000A724: D2890052 00010303
	s_and_b32 s82, s82, 0xffffff                               // 00000000A72C: 8652FF52 00FFFFFF
	s_cmp_lt_u32 s82, s66                                      // 00000000A734: BF0A4252
	s_cselect_b32 s21, s36, s60                                // 00000000A738: 85153C24
	s_mov_b64 exec, s[20:21]                                   // 00000000A73C: BEFE0114
	global_atomic_add_f32 v6, v146, s[8:9] offset:8            // 00000000A740: DD348008 00089206
	global_atomic_add_f32 v6, v150, s[8:9] offset:264          // 00000000A748: DD348108 00089606
	global_atomic_add_f32 v6, v154, s[8:9] offset:520          // 00000000A750: DD348208 00089A06
	global_atomic_add_f32 v6, v158, s[8:9] offset:776          // 00000000A758: DD348308 00089E06
	s_mov_b64 exec, s[36:37]                                   // 00000000A760: BEFE0124
	v_mov_b32_e32 v6, v51                                      // 00000000A764: 7E0C0333
	s_mov_b64 s[60:61], 0                                      // 00000000A768: BEBC0180
	v_readlane_b32 s82, v3, 2                                  // 00000000A76C: D2890052 00010503
	s_and_b32 s82, s82, 0xffffff                               // 00000000A774: 8652FF52 00FFFFFF
	s_cmp_lt_u32 s82, s66                                      // 00000000A77C: BF0A4252
	s_cselect_b32 s20, s36, s60                                // 00000000A780: 85143C24
	v_readlane_b32 s82, v3, 3                                  // 00000000A784: D2890052 00010703
	s_and_b32 s82, s82, 0xffffff                               // 00000000A78C: 8652FF52 00FFFFFF
	s_cmp_lt_u32 s82, s66                                      // 00000000A794: BF0A4252
	s_cselect_b32 s21, s36, s60                                // 00000000A798: 85153C24
	s_mov_b64 exec, s[20:21]                                   // 00000000A79C: BEFE0114
	global_atomic_add_f32 v6, v147, s[8:9] offset:8            // 00000000A7A0: DD348008 00089306
	global_atomic_add_f32 v6, v151, s[8:9] offset:264          // 00000000A7A8: DD348108 00089706
	global_atomic_add_f32 v6, v155, s[8:9] offset:520          // 00000000A7B0: DD348208 00089B06
	global_atomic_add_f32 v6, v159, s[8:9] offset:776          // 00000000A7B8: DD348308 00089F06
	s_mov_b64 exec, s[36:37]                                   // 00000000A7C0: BEFE0124
	v_mov_b32_e32 v6, v52                                      // 00000000A7C4: 7E0C0334
	s_mov_b64 s[60:61], 0                                      // 00000000A7C8: BEBC0180
	v_readlane_b32 s82, v3, 4                                  // 00000000A7CC: D2890052 00010903
	s_and_b32 s82, s82, 0xffffff                               // 00000000A7D4: 8652FF52 00FFFFFF
	s_cmp_lt_u32 s82, s66                                      // 00000000A7DC: BF0A4252
	s_cselect_b32 s20, s36, s60                                // 00000000A7E0: 85143C24
	v_readlane_b32 s82, v3, 5                                  // 00000000A7E4: D2890052 00010B03
	s_and_b32 s82, s82, 0xffffff                               // 00000000A7EC: 8652FF52 00FFFFFF
	s_cmp_lt_u32 s82, s66                                      // 00000000A7F4: BF0A4252
	s_cselect_b32 s21, s36, s60                                // 00000000A7F8: 85153C24
	s_mov_b64 exec, s[20:21]                                   // 00000000A7FC: BEFE0114
	global_atomic_add_f32 v6, v162, s[8:9] offset:8            // 00000000A800: DD348008 0008A206
	global_atomic_add_f32 v6, v166, s[8:9] offset:264          // 00000000A808: DD348108 0008A606
	global_atomic_add_f32 v6, v170, s[8:9] offset:520          // 00000000A810: DD348208 0008AA06
	global_atomic_add_f32 v6, v174, s[8:9] offset:776          // 00000000A818: DD348308 0008AE06
	s_mov_b64 exec, s[36:37]                                   // 00000000A820: BEFE0124
	v_mov_b32_e32 v6, v53                                      // 00000000A824: 7E0C0335
	s_mov_b64 s[60:61], 0                                      // 00000000A828: BEBC0180
	v_readlane_b32 s82, v3, 6                                  // 00000000A82C: D2890052 00010D03
	s_and_b32 s82, s82, 0xffffff                               // 00000000A834: 8652FF52 00FFFFFF
	s_cmp_lt_u32 s82, s66                                      // 00000000A83C: BF0A4252
	s_cselect_b32 s20, s36, s60                                // 00000000A840: 85143C24
	v_readlane_b32 s82, v3, 7                                  // 00000000A844: D2890052 00010F03
	s_and_b32 s82, s82, 0xffffff                               // 00000000A84C: 8652FF52 00FFFFFF
	s_cmp_lt_u32 s82, s66                                      // 00000000A854: BF0A4252
	s_cselect_b32 s21, s36, s60                                // 00000000A858: 85153C24
	s_mov_b64 exec, s[20:21]                                   // 00000000A85C: BEFE0114
	global_atomic_add_f32 v6, v163, s[8:9] offset:8            // 00000000A860: DD348008 0008A306
	global_atomic_add_f32 v6, v167, s[8:9] offset:264          // 00000000A868: DD348108 0008A706
	global_atomic_add_f32 v6, v171, s[8:9] offset:520          // 00000000A870: DD348208 0008AB06
	global_atomic_add_f32 v6, v175, s[8:9] offset:776          // 00000000A878: DD348308 0008AF06
	s_mov_b64 exec, s[36:37]                                   // 00000000A880: BEFE0124
	v_mov_b32_e32 v6, v54                                      // 00000000A884: 7E0C0336
	s_mov_b64 s[60:61], 0                                      // 00000000A888: BEBC0180
	v_readlane_b32 s82, v3, 8                                  // 00000000A88C: D2890052 00011103
	s_and_b32 s82, s82, 0xffffff                               // 00000000A894: 8652FF52 00FFFFFF
	s_cmp_lt_u32 s82, s66                                      // 00000000A89C: BF0A4252
	s_cselect_b32 s20, s36, s60                                // 00000000A8A0: 85143C24
	v_readlane_b32 s82, v3, 9                                  // 00000000A8A4: D2890052 00011303
	s_and_b32 s82, s82, 0xffffff                               // 00000000A8AC: 8652FF52 00FFFFFF
	s_cmp_lt_u32 s82, s66                                      // 00000000A8B4: BF0A4252
	s_cselect_b32 s21, s36, s60                                // 00000000A8B8: 85153C24
	s_mov_b64 exec, s[20:21]                                   // 00000000A8BC: BEFE0114
	global_atomic_add_f32 v6, v178, s[8:9] offset:8            // 00000000A8C0: DD348008 0008B206
	global_atomic_add_f32 v6, v182, s[8:9] offset:264          // 00000000A8C8: DD348108 0008B606
	global_atomic_add_f32 v6, v186, s[8:9] offset:520          // 00000000A8D0: DD348208 0008BA06
	global_atomic_add_f32 v6, v190, s[8:9] offset:776          // 00000000A8D8: DD348308 0008BE06
	s_mov_b64 exec, s[36:37]                                   // 00000000A8E0: BEFE0124
	v_mov_b32_e32 v6, v55                                      // 00000000A8E4: 7E0C0337
	s_mov_b64 s[60:61], 0                                      // 00000000A8E8: BEBC0180
	v_readlane_b32 s82, v3, 10                                 // 00000000A8EC: D2890052 00011503
	s_and_b32 s82, s82, 0xffffff                               // 00000000A8F4: 8652FF52 00FFFFFF
	s_cmp_lt_u32 s82, s66                                      // 00000000A8FC: BF0A4252
	s_cselect_b32 s20, s36, s60                                // 00000000A900: 85143C24
	v_readlane_b32 s82, v3, 11                                 // 00000000A904: D2890052 00011703
	s_and_b32 s82, s82, 0xffffff                               // 00000000A90C: 8652FF52 00FFFFFF
	s_cmp_lt_u32 s82, s66                                      // 00000000A914: BF0A4252
	s_cselect_b32 s21, s36, s60                                // 00000000A918: 85153C24
	s_mov_b64 exec, s[20:21]                                   // 00000000A91C: BEFE0114
	global_atomic_add_f32 v6, v179, s[8:9] offset:8            // 00000000A920: DD348008 0008B306
	global_atomic_add_f32 v6, v183, s[8:9] offset:264          // 00000000A928: DD348108 0008B706
	global_atomic_add_f32 v6, v187, s[8:9] offset:520          // 00000000A930: DD348208 0008BB06
	global_atomic_add_f32 v6, v191, s[8:9] offset:776          // 00000000A938: DD348308 0008BF06
	s_mov_b64 exec, s[36:37]                                   // 00000000A940: BEFE0124
	v_mov_b32_e32 v6, v56                                      // 00000000A944: 7E0C0338
	s_mov_b64 s[60:61], 0                                      // 00000000A948: BEBC0180
	v_readlane_b32 s82, v3, 12                                 // 00000000A94C: D2890052 00011903
	s_and_b32 s82, s82, 0xffffff                               // 00000000A954: 8652FF52 00FFFFFF
	s_cmp_lt_u32 s82, s66                                      // 00000000A95C: BF0A4252
	s_cselect_b32 s20, s36, s60                                // 00000000A960: 85143C24
	v_readlane_b32 s82, v3, 13                                 // 00000000A964: D2890052 00011B03
	s_and_b32 s82, s82, 0xffffff                               // 00000000A96C: 8652FF52 00FFFFFF
	s_cmp_lt_u32 s82, s66                                      // 00000000A974: BF0A4252
	s_cselect_b32 s21, s36, s60                                // 00000000A978: 85153C24
	s_mov_b64 exec, s[20:21]                                   // 00000000A97C: BEFE0114
	global_atomic_add_f32 v6, v194, s[8:9] offset:8            // 00000000A980: DD348008 0008C206
	global_atomic_add_f32 v6, v198, s[8:9] offset:264          // 00000000A988: DD348108 0008C606
	global_atomic_add_f32 v6, v202, s[8:9] offset:520          // 00000000A990: DD348208 0008CA06
	global_atomic_add_f32 v6, v206, s[8:9] offset:776          // 00000000A998: DD348308 0008CE06
	s_mov_b64 exec, s[36:37]                                   // 00000000A9A0: BEFE0124
	v_mov_b32_e32 v6, v57                                      // 00000000A9A4: 7E0C0339
	s_mov_b64 s[60:61], 0                                      // 00000000A9A8: BEBC0180
	v_readlane_b32 s82, v3, 14                                 // 00000000A9AC: D2890052 00011D03
	s_and_b32 s82, s82, 0xffffff                               // 00000000A9B4: 8652FF52 00FFFFFF
	s_cmp_lt_u32 s82, s66                                      // 00000000A9BC: BF0A4252
	s_cselect_b32 s20, s36, s60                                // 00000000A9C0: 85143C24
	v_readlane_b32 s82, v3, 15                                 // 00000000A9C4: D2890052 00011F03
	s_and_b32 s82, s82, 0xffffff                               // 00000000A9CC: 8652FF52 00FFFFFF
	s_cmp_lt_u32 s82, s66                                      // 00000000A9D4: BF0A4252
	s_cselect_b32 s21, s36, s60                                // 00000000A9D8: 85153C24
	s_mov_b64 exec, s[20:21]                                   // 00000000A9DC: BEFE0114
	global_atomic_add_f32 v6, v195, s[8:9] offset:8            // 00000000A9E0: DD348008 0008C306
	global_atomic_add_f32 v6, v199, s[8:9] offset:264          // 00000000A9E8: DD348108 0008C706
	global_atomic_add_f32 v6, v203, s[8:9] offset:520          // 00000000A9F0: DD348208 0008CB06
	global_atomic_add_f32 v6, v207, s[8:9] offset:776          // 00000000A9F8: DD348308 0008CF06
	s_mov_b64 exec, s[36:37]                                   // 00000000AA00: BEFE0124
	v_mov_b32_e32 v6, v58                                      // 00000000AA04: 7E0C033A
	s_mov_b64 s[60:61], 0                                      // 00000000AA08: BEBC0180
	v_readlane_b32 s82, v3, 16                                 // 00000000AA0C: D2890052 00012103
	s_and_b32 s82, s82, 0xffffff                               // 00000000AA14: 8652FF52 00FFFFFF
	s_cmp_lt_u32 s82, s66                                      // 00000000AA1C: BF0A4252
	s_cselect_b32 s20, s36, s60                                // 00000000AA20: 85143C24
	v_readlane_b32 s82, v3, 17                                 // 00000000AA24: D2890052 00012303
	s_and_b32 s82, s82, 0xffffff                               // 00000000AA2C: 8652FF52 00FFFFFF
	s_cmp_lt_u32 s82, s66                                      // 00000000AA34: BF0A4252
	s_cselect_b32 s21, s36, s60                                // 00000000AA38: 85153C24
	s_mov_b64 exec, s[20:21]                                   // 00000000AA3C: BEFE0114
	global_atomic_add_f32 v6, v210, s[8:9] offset:8            // 00000000AA40: DD348008 0008D206
	global_atomic_add_f32 v6, v214, s[8:9] offset:264          // 00000000AA48: DD348108 0008D606
	global_atomic_add_f32 v6, v218, s[8:9] offset:520          // 00000000AA50: DD348208 0008DA06
	global_atomic_add_f32 v6, v222, s[8:9] offset:776          // 00000000AA58: DD348308 0008DE06
	s_mov_b64 exec, s[36:37]                                   // 00000000AA60: BEFE0124
	v_mov_b32_e32 v6, v59                                      // 00000000AA64: 7E0C033B
	s_mov_b64 s[60:61], 0                                      // 00000000AA68: BEBC0180
	v_readlane_b32 s82, v3, 18                                 // 00000000AA6C: D2890052 00012503
	s_and_b32 s82, s82, 0xffffff                               // 00000000AA74: 8652FF52 00FFFFFF
	s_cmp_lt_u32 s82, s66                                      // 00000000AA7C: BF0A4252
	s_cselect_b32 s20, s36, s60                                // 00000000AA80: 85143C24
	v_readlane_b32 s82, v3, 19                                 // 00000000AA84: D2890052 00012703
	s_and_b32 s82, s82, 0xffffff                               // 00000000AA8C: 8652FF52 00FFFFFF
	s_cmp_lt_u32 s82, s66                                      // 00000000AA94: BF0A4252
	s_cselect_b32 s21, s36, s60                                // 00000000AA98: 85153C24
	s_mov_b64 exec, s[20:21]                                   // 00000000AA9C: BEFE0114
	global_atomic_add_f32 v6, v211, s[8:9] offset:8            // 00000000AAA0: DD348008 0008D306
	global_atomic_add_f32 v6, v215, s[8:9] offset:264          // 00000000AAA8: DD348108 0008D706
	global_atomic_add_f32 v6, v219, s[8:9] offset:520          // 00000000AAB0: DD348208 0008DB06
	global_atomic_add_f32 v6, v223, s[8:9] offset:776          // 00000000AAB8: DD348308 0008DF06
	s_mov_b64 exec, s[36:37]                                   // 00000000AAC0: BEFE0124
	s_branch label_3D34                                        // 00000000AAC4: BF821CFF

000000000000aac8 <label_2035>:
	s_waitcnt vmcnt(18) lgkmcnt(0)                             // 00000000AAC8: BF8C4072
	v_mfma_f32_16x16x32_fp8_fp8 v[64:67], a[80:81], a[0:1], v[64:67]// 00000000AACC: D3F30040 1D020150
	buffer_load_dwordx4 a[144:147], v60, s[24:27], 0 offen     // 00000000AAD4: E05C1000 8086903C
	v_mfma_f32_16x16x32_fp8_fp8 v[64:67], a[82:83], a[2:3], v[64:67]// 00000000AADC: D3F30040 1D020552
	v_mfma_f32_16x16x32_fp8_fp8 v[64:67], a[84:85], a[4:5], v[64:67]// 00000000AAE4: D3F30040 1D020954
	v_mfma_f32_16x16x32_fp8_fp8 v[64:67], a[86:87], a[6:7], v[64:67]// 00000000AAEC: D3F30040 1D020D56
	v_mfma_f32_16x16x32_fp8_fp8 v[84:87], a[88:89], a[0:1], v[84:87]// 00000000AAF4: D3F30054 1D520158
	buffer_load_dwordx4 a[148:151], v60, s[24:27], 0 offen offset:1024// 00000000AAFC: E05C1400 8086943C
	v_mfma_f32_16x16x32_fp8_fp8 v[84:87], a[90:91], a[2:3], v[84:87]// 00000000AB04: D3F30054 1D52055A
	v_mfma_f32_16x16x32_fp8_fp8 v[84:87], a[92:93], a[4:5], v[84:87]// 00000000AB0C: D3F30054 1D52095C
	v_mfma_f32_16x16x32_fp8_fp8 v[84:87], a[94:95], a[6:7], v[84:87]// 00000000AB14: D3F30054 1D520D5E
	v_mfma_f32_16x16x32_fp8_fp8 v[104:107], a[96:97], a[0:1], v[104:107]// 00000000AB1C: D3F30068 1DA20160
	buffer_load_dwordx4 a[152:155], v61, s[24:27], 0 offen     // 00000000AB24: E05C1000 8086983D
	v_mfma_f32_16x16x32_fp8_fp8 v[104:107], a[98:99], a[2:3], v[104:107]// 00000000AB2C: D3F30068 1DA20562
	v_mfma_f32_16x16x32_fp8_fp8 v[104:107], a[100:101], a[4:5], v[104:107]// 00000000AB34: D3F30068 1DA20964
	v_mfma_f32_16x16x32_fp8_fp8 v[104:107], a[102:103], a[6:7], v[104:107]// 00000000AB3C: D3F30068 1DA20D66
	v_mfma_f32_16x16x32_fp8_fp8 v[124:127], a[104:105], a[0:1], v[124:127]// 00000000AB44: D3F3007C 1DF20168
	buffer_load_dwordx4 a[156:159], v61, s[24:27], 0 offen offset:1024// 00000000AB4C: E05C1400 80869C3D
	v_mfma_f32_16x16x32_fp8_fp8 v[124:127], a[106:107], a[2:3], v[124:127]// 00000000AB54: D3F3007C 1DF2056A
	v_mfma_f32_16x16x32_fp8_fp8 v[124:127], a[108:109], a[4:5], v[124:127]// 00000000AB5C: D3F3007C 1DF2096C
	v_mfma_f32_16x16x32_fp8_fp8 v[124:127], a[110:111], a[6:7], v[124:127]// 00000000AB64: D3F3007C 1DF20D6E
	v_mfma_f32_16x16x32_fp8_fp8 v[68:71], a[80:81], a[8:9], v[68:71]// 00000000AB6C: D3F30044 1D121150
	buffer_load_dwordx4 a[160:163], v62, s[24:27], 0 offen     // 00000000AB74: E05C1000 8086A03E
	v_mfma_f32_16x16x32_fp8_fp8 v[68:71], a[82:83], a[10:11], v[68:71]// 00000000AB7C: D3F30044 1D121552
	v_mfma_f32_16x16x32_fp8_fp8 v[68:71], a[84:85], a[12:13], v[68:71]// 00000000AB84: D3F30044 1D121954
	v_mfma_f32_16x16x32_fp8_fp8 v[68:71], a[86:87], a[14:15], v[68:71]// 00000000AB8C: D3F30044 1D121D56
	v_mfma_f32_16x16x32_fp8_fp8 v[88:91], a[88:89], a[8:9], v[88:91]// 00000000AB94: D3F30058 1D621158
	buffer_load_dwordx4 a[164:167], v62, s[24:27], 0 offen offset:1024// 00000000AB9C: E05C1400 8086A43E
	v_mfma_f32_16x16x32_fp8_fp8 v[88:91], a[90:91], a[10:11], v[88:91]// 00000000ABA4: D3F30058 1D62155A
	v_mfma_f32_16x16x32_fp8_fp8 v[88:91], a[92:93], a[12:13], v[88:91]// 00000000ABAC: D3F30058 1D62195C
	v_mfma_f32_16x16x32_fp8_fp8 v[88:91], a[94:95], a[14:15], v[88:91]// 00000000ABB4: D3F30058 1D621D5E
	v_mfma_f32_16x16x32_fp8_fp8 v[108:111], a[96:97], a[8:9], v[108:111]// 00000000ABBC: D3F3006C 1DB21160
	buffer_load_dwordx4 a[168:171], v63, s[24:27], 0 offen     // 00000000ABC4: E05C1000 8086A83F
	v_mfma_f32_16x16x32_fp8_fp8 v[108:111], a[98:99], a[10:11], v[108:111]// 00000000ABCC: D3F3006C 1DB21562
	v_mfma_f32_16x16x32_fp8_fp8 v[108:111], a[100:101], a[12:13], v[108:111]// 00000000ABD4: D3F3006C 1DB21964
	v_mfma_f32_16x16x32_fp8_fp8 v[108:111], a[102:103], a[14:15], v[108:111]// 00000000ABDC: D3F3006C 1DB21D66
	v_mfma_f32_16x16x32_fp8_fp8 v[128:131], a[104:105], a[8:9], v[128:131]// 00000000ABE4: D3F30080 1E021168
	buffer_load_dwordx4 a[172:175], v63, s[24:27], 0 offen offset:1024// 00000000ABEC: E05C1400 8086AC3F
	buffer_load_dword v50, s[20:23], 0 offen lds               // 00000000ABF4: E0511000 80050032
	s_add_u32 m0, 0x100, s50                                   // 00000000ABFC: 807C32FF 00000100
	v_mfma_f32_16x16x32_fp8_fp8 v[128:131], a[106:107], a[10:11], v[128:131]// 00000000AC04: D3F30080 1E02156A
	v_mfma_f32_16x16x32_fp8_fp8 v[128:131], a[108:109], a[12:13], v[128:131]// 00000000AC0C: D3F30080 1E02196C
	buffer_load_dword v51, s[20:23], 0 offen lds               // 00000000AC14: E0511000 80050033
	s_add_u32 m0, 0x200, s50                                   // 00000000AC1C: 807C32FF 00000200
	v_mfma_f32_16x16x32_fp8_fp8 v[128:131], a[110:111], a[14:15], v[128:131]// 00000000AC24: D3F30080 1E021D6E
	v_mfma_f32_16x16x32_fp8_fp8 v[72:75], a[80:81], a[16:17], v[72:75]// 00000000AC2C: D3F30048 1D222150
	buffer_load_dword v52, s[20:23], 0 offen lds               // 00000000AC34: E0511000 80050034
	s_add_u32 m0, 0x300, s50                                   // 00000000AC3C: 807C32FF 00000300
	v_mfma_f32_16x16x32_fp8_fp8 v[72:75], a[82:83], a[18:19], v[72:75]// 00000000AC44: D3F30048 1D222552
	v_mfma_f32_16x16x32_fp8_fp8 v[72:75], a[84:85], a[20:21], v[72:75]// 00000000AC4C: D3F30048 1D222954
	buffer_load_dword v53, s[20:23], 0 offen lds               // 00000000AC54: E0511000 80050035
	s_add_u32 m0, 0x400, s50                                   // 00000000AC5C: 807C32FF 00000400
	v_mfma_f32_16x16x32_fp8_fp8 v[72:75], a[86:87], a[22:23], v[72:75]// 00000000AC64: D3F30048 1D222D56
	v_mfma_f32_16x16x32_fp8_fp8 v[92:95], a[88:89], a[16:17], v[92:95]// 00000000AC6C: D3F3005C 1D722158
	buffer_load_dword v54, s[20:23], 0 offen lds               // 00000000AC74: E0511000 80050036
	s_add_u32 m0, 0x500, s50                                   // 00000000AC7C: 807C32FF 00000500
	v_mfma_f32_16x16x32_fp8_fp8 v[92:95], a[90:91], a[18:19], v[92:95]// 00000000AC84: D3F3005C 1D72255A
	v_mfma_f32_16x16x32_fp8_fp8 v[92:95], a[92:93], a[20:21], v[92:95]// 00000000AC8C: D3F3005C 1D72295C
	buffer_load_dword v55, s[20:23], 0 offen lds               // 00000000AC94: E0511000 80050037
	s_add_u32 m0, 0x600, s50                                   // 00000000AC9C: 807C32FF 00000600
	v_mfma_f32_16x16x32_fp8_fp8 v[92:95], a[94:95], a[22:23], v[92:95]// 00000000ACA4: D3F3005C 1D722D5E
	v_mfma_f32_16x16x32_fp8_fp8 v[112:115], a[96:97], a[16:17], v[112:115]// 00000000ACAC: D3F30070 1DC22160
	buffer_load_dword v56, s[20:23], 0 offen lds               // 00000000ACB4: E0511000 80050038
	s_add_u32 m0, 0x700, s50                                   // 00000000ACBC: 807C32FF 00000700
	v_mfma_f32_16x16x32_fp8_fp8 v[112:115], a[98:99], a[18:19], v[112:115]// 00000000ACC4: D3F30070 1DC22562
	v_mfma_f32_16x16x32_fp8_fp8 v[112:115], a[100:101], a[20:21], v[112:115]// 00000000ACCC: D3F30070 1DC22964
	buffer_load_dword v57, s[20:23], 0 offen lds               // 00000000ACD4: E0511000 80050039
	s_add_u32 m0, 0x800, s50                                   // 00000000ACDC: 807C32FF 00000800
	v_mfma_f32_16x16x32_fp8_fp8 v[112:115], a[102:103], a[22:23], v[112:115]// 00000000ACE4: D3F30070 1DC22D66
	v_mfma_f32_16x16x32_fp8_fp8 v[132:135], a[104:105], a[16:17], v[132:135]// 00000000ACEC: D3F30084 1E122168
	buffer_load_dword v58, s[20:23], 0 offen lds               // 00000000ACF4: E0511000 8005003A
	s_add_u32 m0, 0x900, s50                                   // 00000000ACFC: 807C32FF 00000900
	v_mfma_f32_16x16x32_fp8_fp8 v[132:135], a[106:107], a[18:19], v[132:135]// 00000000AD04: D3F30084 1E12256A
	v_mfma_f32_16x16x32_fp8_fp8 v[132:135], a[108:109], a[20:21], v[132:135]// 00000000AD0C: D3F30084 1E12296C
	buffer_load_dword v59, s[20:23], 0 offen lds               // 00000000AD14: E0511000 8005003B
	s_add_u32 m0, 0, s48                                       // 00000000AD1C: 807C3080
	v_mfma_f32_16x16x32_fp8_fp8 v[132:135], a[110:111], a[22:23], v[132:135]// 00000000AD20: D3F30084 1E122D6E
	v_mfma_f32_16x16x32_fp8_fp8 v[76:79], a[80:81], a[24:25], v[76:79]// 00000000AD28: D3F3004C 1D323150
	v_mfma_f32_16x16x32_fp8_fp8 v[76:79], a[82:83], a[26:27], v[76:79]// 00000000AD30: D3F3004C 1D323552
	v_mfma_f32_16x16x32_fp8_fp8 v[76:79], a[84:85], a[28:29], v[76:79]// 00000000AD38: D3F3004C 1D323954
	v_mfma_f32_16x16x32_fp8_fp8 v[76:79], a[86:87], a[30:31], v[76:79]// 00000000AD40: D3F3004C 1D323D56
	v_mfma_f32_16x16x32_fp8_fp8 v[96:99], a[88:89], a[24:25], v[96:99]// 00000000AD48: D3F30060 1D823158
	v_mfma_f32_16x16x32_fp8_fp8 v[96:99], a[90:91], a[26:27], v[96:99]// 00000000AD50: D3F30060 1D82355A
	v_mfma_f32_16x16x32_fp8_fp8 v[96:99], a[92:93], a[28:29], v[96:99]// 00000000AD58: D3F30060 1D82395C
	v_mfma_f32_16x16x32_fp8_fp8 v[96:99], a[94:95], a[30:31], v[96:99]// 00000000AD60: D3F30060 1D823D5E
	v_mfma_f32_16x16x32_fp8_fp8 v[116:119], a[96:97], a[24:25], v[116:119]// 00000000AD68: D3F30074 1DD23160
	v_mfma_f32_16x16x32_fp8_fp8 v[116:119], a[98:99], a[26:27], v[116:119]// 00000000AD70: D3F30074 1DD23562
	v_mfma_f32_16x16x32_fp8_fp8 v[116:119], a[100:101], a[28:29], v[116:119]// 00000000AD78: D3F30074 1DD23964
	v_mfma_f32_16x16x32_fp8_fp8 v[116:119], a[102:103], a[30:31], v[116:119]// 00000000AD80: D3F30074 1DD23D66
	v_mfma_f32_16x16x32_fp8_fp8 v[136:139], a[104:105], a[24:25], v[136:139]// 00000000AD88: D3F30088 1E223168
	v_mfma_f32_16x16x32_fp8_fp8 v[136:139], a[106:107], a[26:27], v[136:139]// 00000000AD90: D3F30088 1E22356A
	v_mfma_f32_16x16x32_fp8_fp8 v[136:139], a[108:109], a[28:29], v[136:139]// 00000000AD98: D3F30088 1E22396C
	v_mfma_f32_16x16x32_fp8_fp8 v[136:139], a[110:111], a[30:31], v[136:139]// 00000000ADA0: D3F30088 1E223D6E
	v_mfma_f32_16x16x32_fp8_fp8 v[80:83], a[80:81], a[32:33], v[80:83]// 00000000ADA8: D3F30050 1D424150
	v_mfma_f32_16x16x32_fp8_fp8 v[80:83], a[82:83], a[34:35], v[80:83]// 00000000ADB0: D3F30050 1D424552
	v_mfma_f32_16x16x32_fp8_fp8 v[80:83], a[84:85], a[36:37], v[80:83]// 00000000ADB8: D3F30050 1D424954
	v_mfma_f32_16x16x32_fp8_fp8 v[80:83], a[86:87], a[38:39], v[80:83]// 00000000ADC0: D3F30050 1D424D56
	v_mfma_f32_16x16x32_fp8_fp8 v[100:103], a[88:89], a[32:33], v[100:103]// 00000000ADC8: D3F30064 1D924158
	v_mfma_f32_16x16x32_fp8_fp8 v[100:103], a[90:91], a[34:35], v[100:103]// 00000000ADD0: D3F30064 1D92455A
	v_mfma_f32_16x16x32_fp8_fp8 v[100:103], a[92:93], a[36:37], v[100:103]// 00000000ADD8: D3F30064 1D92495C
	v_mfma_f32_16x16x32_fp8_fp8 v[100:103], a[94:95], a[38:39], v[100:103]// 00000000ADE0: D3F30064 1D924D5E
	v_mfma_f32_16x16x32_fp8_fp8 v[120:123], a[96:97], a[32:33], v[120:123]// 00000000ADE8: D3F30078 1DE24160
	v_mfma_f32_16x16x32_fp8_fp8 v[120:123], a[98:99], a[34:35], v[120:123]// 00000000ADF0: D3F30078 1DE24562
	v_mfma_f32_16x16x32_fp8_fp8 v[120:123], a[100:101], a[36:37], v[120:123]// 00000000ADF8: D3F30078 1DE24964
	v_mfma_f32_16x16x32_fp8_fp8 v[120:123], a[102:103], a[38:39], v[120:123]// 00000000AE00: D3F30078 1DE24D66
	v_mfma_f32_16x16x32_fp8_fp8 v[140:143], a[104:105], a[32:33], v[140:143]// 00000000AE08: D3F3008C 1E324168
	v_mfma_f32_16x16x32_fp8_fp8 v[140:143], a[106:107], a[34:35], v[140:143]// 00000000AE10: D3F3008C 1E32456A
	v_mfma_f32_16x16x32_fp8_fp8 v[140:143], a[108:109], a[36:37], v[140:143]// 00000000AE18: D3F3008C 1E32496C
	v_mfma_f32_16x16x32_fp8_fp8 v[140:143], a[110:111], a[38:39], v[140:143]// 00000000AE20: D3F3008C 1E324D6E
	s_waitcnt vmcnt(18)                                        // 00000000AE28: BF8C4F72
	s_barrier                                                  // 00000000AE2C: BF8A0000
	v_mfma_f32_16x16x32_fp8_fp8 v[144:147], a[112:113], a[0:1], v[144:147]// 00000000AE30: D3F30090 1E420170
	buffer_load_dwordx4 a[80:83], v60, s[84:87], 0 offen       // 00000000AE38: E05C1000 8095503C
	v_mfma_f32_16x16x32_fp8_fp8 v[144:147], a[114:115], a[2:3], v[144:147]// 00000000AE40: D3F30090 1E420572
	v_mfma_f32_16x16x32_fp8_fp8 v[144:147], a[116:117], a[4:5], v[144:147]// 00000000AE48: D3F30090 1E420974
	ds_read_b128 a[40:43], v2 offset:10368                     // 00000000AE50: DBFE2880 28000002
	ds_read_b128 a[44:47], v2 offset:10432                     // 00000000AE58: DBFE28C0 2C000002
	v_mfma_f32_16x16x32_fp8_fp8 v[144:147], a[118:119], a[6:7], v[144:147]// 00000000AE60: D3F30090 1E420D76
	v_mfma_f32_16x16x32_fp8_fp8 v[164:167], a[120:121], a[0:1], v[164:167]// 00000000AE68: D3F300A4 1E920178
	buffer_load_dwordx4 a[84:87], v60, s[84:87], 0 offen offset:1024// 00000000AE70: E05C1400 8095543C
	v_mfma_f32_16x16x32_fp8_fp8 v[164:167], a[122:123], a[2:3], v[164:167]// 00000000AE78: D3F300A4 1E92057A
	v_mfma_f32_16x16x32_fp8_fp8 v[164:167], a[124:125], a[4:5], v[164:167]// 00000000AE80: D3F300A4 1E92097C
	ds_read_b128 a[48:51], v2 offset:10880                     // 00000000AE88: DBFE2A80 30000002
	ds_read_b128 a[52:55], v2 offset:10944                     // 00000000AE90: DBFE2AC0 34000002
	v_mfma_f32_16x16x32_fp8_fp8 v[164:167], a[126:127], a[6:7], v[164:167]// 00000000AE98: D3F300A4 1E920D7E
	v_mfma_f32_16x16x32_fp8_fp8 v[184:187], a[128:129], a[0:1], v[184:187]// 00000000AEA0: D3F300B8 1EE20180
	buffer_load_dwordx4 a[88:91], v61, s[84:87], 0 offen       // 00000000AEA8: E05C1000 8095583D
	v_mfma_f32_16x16x32_fp8_fp8 v[184:187], a[130:131], a[2:3], v[184:187]// 00000000AEB0: D3F300B8 1EE20582
	v_mfma_f32_16x16x32_fp8_fp8 v[184:187], a[132:133], a[4:5], v[184:187]// 00000000AEB8: D3F300B8 1EE20984
	ds_read_b128 a[56:59], v2 offset:11392                     // 00000000AEC0: DBFE2C80 38000002
	ds_read_b128 a[60:63], v2 offset:11456                     // 00000000AEC8: DBFE2CC0 3C000002
	v_mfma_f32_16x16x32_fp8_fp8 v[184:187], a[134:135], a[6:7], v[184:187]// 00000000AED0: D3F300B8 1EE20D86
	v_mfma_f32_16x16x32_fp8_fp8 v[204:207], a[136:137], a[0:1], v[204:207]// 00000000AED8: D3F300CC 1F320188
	buffer_load_dwordx4 a[92:95], v61, s[84:87], 0 offen offset:1024// 00000000AEE0: E05C1400 80955C3D
	v_mfma_f32_16x16x32_fp8_fp8 v[204:207], a[138:139], a[2:3], v[204:207]// 00000000AEE8: D3F300CC 1F32058A
	v_mfma_f32_16x16x32_fp8_fp8 v[204:207], a[140:141], a[4:5], v[204:207]// 00000000AEF0: D3F300CC 1F32098C
	ds_read_b128 a[64:67], v2 offset:11904                     // 00000000AEF8: DBFE2E80 40000002
	ds_read_b128 a[68:71], v2 offset:11968                     // 00000000AF00: DBFE2EC0 44000002
	v_mfma_f32_16x16x32_fp8_fp8 v[204:207], a[142:143], a[6:7], v[204:207]// 00000000AF08: D3F300CC 1F320D8E
	v_mfma_f32_16x16x32_fp8_fp8 v[148:151], a[112:113], a[8:9], v[148:151]// 00000000AF10: D3F30094 1E521170
	buffer_load_dwordx4 a[96:99], v62, s[84:87], 0 offen       // 00000000AF18: E05C1000 8095603E
	v_mfma_f32_16x16x32_fp8_fp8 v[148:151], a[114:115], a[10:11], v[148:151]// 00000000AF20: D3F30094 1E521572
	v_mfma_f32_16x16x32_fp8_fp8 v[148:151], a[116:117], a[12:13], v[148:151]// 00000000AF28: D3F30094 1E521974
	ds_read_b128 a[72:75], v2 offset:12416                     // 00000000AF30: DBFE3080 48000002
	ds_read_b128 a[76:79], v2 offset:12480                     // 00000000AF38: DBFE30C0 4C000002
	v_mfma_f32_16x16x32_fp8_fp8 v[148:151], a[118:119], a[14:15], v[148:151]// 00000000AF40: D3F30094 1E521D76
	v_mfma_f32_16x16x32_fp8_fp8 v[168:171], a[120:121], a[8:9], v[168:171]// 00000000AF48: D3F300A8 1EA21178
	buffer_load_dwordx4 a[100:103], v62, s[84:87], 0 offen offset:1024// 00000000AF50: E05C1400 8095643E
	v_mfma_f32_16x16x32_fp8_fp8 v[168:171], a[122:123], a[10:11], v[168:171]// 00000000AF58: D3F300A8 1EA2157A
	v_mfma_f32_16x16x32_fp8_fp8 v[168:171], a[124:125], a[12:13], v[168:171]// 00000000AF60: D3F300A8 1EA2197C
	v_mfma_f32_16x16x32_fp8_fp8 v[168:171], a[126:127], a[14:15], v[168:171]// 00000000AF68: D3F300A8 1EA21D7E
	v_mfma_f32_16x16x32_fp8_fp8 v[188:191], a[128:129], a[8:9], v[188:191]// 00000000AF70: D3F300BC 1EF21180
	buffer_load_dwordx4 a[104:107], v63, s[84:87], 0 offen     // 00000000AF78: E05C1000 8095683F
	v_mfma_f32_16x16x32_fp8_fp8 v[188:191], a[130:131], a[10:11], v[188:191]// 00000000AF80: D3F300BC 1EF21582
	v_mfma_f32_16x16x32_fp8_fp8 v[188:191], a[132:133], a[12:13], v[188:191]// 00000000AF88: D3F300BC 1EF21984
	v_mfma_f32_16x16x32_fp8_fp8 v[188:191], a[134:135], a[14:15], v[188:191]// 00000000AF90: D3F300BC 1EF21D86
	v_mfma_f32_16x16x32_fp8_fp8 v[208:211], a[136:137], a[8:9], v[208:211]// 00000000AF98: D3F300D0 1F421188
	buffer_load_dwordx4 a[108:111], v63, s[84:87], 0 offen offset:1024// 00000000AFA0: E05C1400 80956C3F
	v_mfma_f32_16x16x32_fp8_fp8 v[208:211], a[138:139], a[10:11], v[208:211]// 00000000AFA8: D3F300D0 1F42158A
	v_mfma_f32_16x16x32_fp8_fp8 v[208:211], a[140:141], a[12:13], v[208:211]// 00000000AFB0: D3F300D0 1F42198C
	v_mfma_f32_16x16x32_fp8_fp8 v[208:211], a[142:143], a[14:15], v[208:211]// 00000000AFB8: D3F300D0 1F421D8E
	v_mfma_f32_16x16x32_fp8_fp8 v[152:155], a[112:113], a[16:17], v[152:155]// 00000000AFC0: D3F30098 1E622170
	v_mfma_f32_16x16x32_fp8_fp8 v[152:155], a[114:115], a[18:19], v[152:155]// 00000000AFC8: D3F30098 1E622572
	v_mfma_f32_16x16x32_fp8_fp8 v[152:155], a[116:117], a[20:21], v[152:155]// 00000000AFD0: D3F30098 1E622974
	v_mfma_f32_16x16x32_fp8_fp8 v[152:155], a[118:119], a[22:23], v[152:155]// 00000000AFD8: D3F30098 1E622D76
	v_mfma_f32_16x16x32_fp8_fp8 v[172:175], a[120:121], a[16:17], v[172:175]// 00000000AFE0: D3F300AC 1EB22178
	v_mfma_f32_16x16x32_fp8_fp8 v[172:175], a[122:123], a[18:19], v[172:175]// 00000000AFE8: D3F300AC 1EB2257A
	v_mfma_f32_16x16x32_fp8_fp8 v[172:175], a[124:125], a[20:21], v[172:175]// 00000000AFF0: D3F300AC 1EB2297C
	v_mfma_f32_16x16x32_fp8_fp8 v[172:175], a[126:127], a[22:23], v[172:175]// 00000000AFF8: D3F300AC 1EB22D7E
	v_mfma_f32_16x16x32_fp8_fp8 v[192:195], a[128:129], a[16:17], v[192:195]// 00000000B000: D3F300C0 1F022180
	v_mfma_f32_16x16x32_fp8_fp8 v[192:195], a[130:131], a[18:19], v[192:195]// 00000000B008: D3F300C0 1F022582
	v_mfma_f32_16x16x32_fp8_fp8 v[192:195], a[132:133], a[20:21], v[192:195]// 00000000B010: D3F300C0 1F022984
	v_mfma_f32_16x16x32_fp8_fp8 v[192:195], a[134:135], a[22:23], v[192:195]// 00000000B018: D3F300C0 1F022D86
	v_mfma_f32_16x16x32_fp8_fp8 v[212:215], a[136:137], a[16:17], v[212:215]// 00000000B020: D3F300D4 1F522188
	v_mfma_f32_16x16x32_fp8_fp8 v[212:215], a[138:139], a[18:19], v[212:215]// 00000000B028: D3F300D4 1F52258A
	v_mfma_f32_16x16x32_fp8_fp8 v[212:215], a[140:141], a[20:21], v[212:215]// 00000000B030: D3F300D4 1F52298C
	v_mfma_f32_16x16x32_fp8_fp8 v[212:215], a[142:143], a[22:23], v[212:215]// 00000000B038: D3F300D4 1F522D8E
	v_mfma_f32_16x16x32_fp8_fp8 v[156:159], a[112:113], a[24:25], v[156:159]// 00000000B040: D3F3009C 1E723170
	v_mfma_f32_16x16x32_fp8_fp8 v[156:159], a[114:115], a[26:27], v[156:159]// 00000000B048: D3F3009C 1E723572
	v_mfma_f32_16x16x32_fp8_fp8 v[156:159], a[116:117], a[28:29], v[156:159]// 00000000B050: D3F3009C 1E723974
	v_mfma_f32_16x16x32_fp8_fp8 v[156:159], a[118:119], a[30:31], v[156:159]// 00000000B058: D3F3009C 1E723D76
	v_mfma_f32_16x16x32_fp8_fp8 v[176:179], a[120:121], a[24:25], v[176:179]// 00000000B060: D3F300B0 1EC23178
	v_mfma_f32_16x16x32_fp8_fp8 v[176:179], a[122:123], a[26:27], v[176:179]// 00000000B068: D3F300B0 1EC2357A
	v_mfma_f32_16x16x32_fp8_fp8 v[176:179], a[124:125], a[28:29], v[176:179]// 00000000B070: D3F300B0 1EC2397C
	v_mfma_f32_16x16x32_fp8_fp8 v[176:179], a[126:127], a[30:31], v[176:179]// 00000000B078: D3F300B0 1EC23D7E
	v_mfma_f32_16x16x32_fp8_fp8 v[196:199], a[128:129], a[24:25], v[196:199]// 00000000B080: D3F300C4 1F123180
	v_mfma_f32_16x16x32_fp8_fp8 v[196:199], a[130:131], a[26:27], v[196:199]// 00000000B088: D3F300C4 1F123582
	v_mfma_f32_16x16x32_fp8_fp8 v[196:199], a[132:133], a[28:29], v[196:199]// 00000000B090: D3F300C4 1F123984
	v_mfma_f32_16x16x32_fp8_fp8 v[196:199], a[134:135], a[30:31], v[196:199]// 00000000B098: D3F300C4 1F123D86
	v_mfma_f32_16x16x32_fp8_fp8 v[216:219], a[136:137], a[24:25], v[216:219]// 00000000B0A0: D3F300D8 1F623188
	v_mfma_f32_16x16x32_fp8_fp8 v[216:219], a[138:139], a[26:27], v[216:219]// 00000000B0A8: D3F300D8 1F62358A
	v_mfma_f32_16x16x32_fp8_fp8 v[216:219], a[140:141], a[28:29], v[216:219]// 00000000B0B0: D3F300D8 1F62398C
	v_mfma_f32_16x16x32_fp8_fp8 v[216:219], a[142:143], a[30:31], v[216:219]// 00000000B0B8: D3F300D8 1F623D8E
	v_mfma_f32_16x16x32_fp8_fp8 v[160:163], a[112:113], a[32:33], v[160:163]// 00000000B0C0: D3F300A0 1E824170
	v_mfma_f32_16x16x32_fp8_fp8 v[160:163], a[114:115], a[34:35], v[160:163]// 00000000B0C8: D3F300A0 1E824572
	v_mfma_f32_16x16x32_fp8_fp8 v[160:163], a[116:117], a[36:37], v[160:163]// 00000000B0D0: D3F300A0 1E824974
	v_mfma_f32_16x16x32_fp8_fp8 v[160:163], a[118:119], a[38:39], v[160:163]// 00000000B0D8: D3F300A0 1E824D76
	v_mfma_f32_16x16x32_fp8_fp8 v[180:183], a[120:121], a[32:33], v[180:183]// 00000000B0E0: D3F300B4 1ED24178
	v_mfma_f32_16x16x32_fp8_fp8 v[180:183], a[122:123], a[34:35], v[180:183]// 00000000B0E8: D3F300B4 1ED2457A
	v_mfma_f32_16x16x32_fp8_fp8 v[180:183], a[124:125], a[36:37], v[180:183]// 00000000B0F0: D3F300B4 1ED2497C
	v_mfma_f32_16x16x32_fp8_fp8 v[180:183], a[126:127], a[38:39], v[180:183]// 00000000B0F8: D3F300B4 1ED24D7E
	v_mfma_f32_16x16x32_fp8_fp8 v[200:203], a[128:129], a[32:33], v[200:203]// 00000000B100: D3F300C8 1F224180
	s_add_u32 s60, 0x180, s80                                  // 00000000B108: 803C50FF 00000180
	s_cmp_lt_u32 s60, s81                                      // 00000000B110: BF0A513C
	s_cselect_b32 s57, s57, 0                                  // 00000000B114: 85398039
	v_mfma_f32_16x16x32_fp8_fp8 v[200:203], a[130:131], a[34:35], v[200:203]// 00000000B118: D3F300C8 1F224582
	s_add_u32 s60, 0x100, s80                                  // 00000000B120: 803C50FF 00000100
	s_cmp_lt_u32 s60, s81                                      // 00000000B128: BF0A513C
	s_cselect_b32 s58, s58, 0                                  // 00000000B12C: 853A803A
	v_mfma_f32_16x16x32_fp8_fp8 v[200:203], a[132:133], a[36:37], v[200:203]// 00000000B130: D3F300C8 1F224984
	s_add_u32 s60, 0x100, s80                                  // 00000000B138: 803C50FF 00000100
	s_cmp_lt_u32 s60, s81                                      // 00000000B140: BF0A513C
	s_cselect_b32 s83, s83, 0                                  // 00000000B144: 85538053
	v_mfma_f32_16x16x32_fp8_fp8 v[200:203], a[134:135], a[38:39], v[200:203]// 00000000B148: D3F300C8 1F224D86
	s_add_u32 s24, s58, s24                                    // 00000000B150: 8018183A
	s_addc_u32 s25, 0, s25                                     // 00000000B154: 82191980
	v_mfma_f32_16x16x32_fp8_fp8 v[220:223], a[136:137], a[32:33], v[220:223]// 00000000B158: D3F300DC 1F724188
	s_add_u32 s20, s57, s20                                    // 00000000B160: 80141439
	s_addc_u32 s21, 0, s21                                     // 00000000B164: 82151580
	v_mfma_f32_16x16x32_fp8_fp8 v[220:223], a[138:139], a[34:35], v[220:223]// 00000000B168: D3F300DC 1F72458A
	s_add_u32 s84, s83, s84                                    // 00000000B170: 80545453
	s_addc_u32 s85, 0, s85                                     // 00000000B174: 82555580
	v_mfma_f32_16x16x32_fp8_fp8 v[220:223], a[140:141], a[36:37], v[220:223]// 00000000B178: D3F300DC 1F72498C
	v_mfma_f32_16x16x32_fp8_fp8 v[220:223], a[142:143], a[38:39], v[220:223]// 00000000B180: D3F300DC 1F724D8E
	s_addk_i32 s80, 0x80                                       // 00000000B188: B7500080
	s_cmp_lt_i32 s80, s81                                      // 00000000B18C: BF045150
	s_cbranch_scc0 label_2A68                                  // 00000000B190: BF840880
	s_waitcnt vmcnt(18) lgkmcnt(0)                             // 00000000B194: BF8C4072
	v_mfma_f32_16x16x32_fp8_fp8 v[64:67], a[144:145], a[40:41], v[64:67]// 00000000B198: D3F30040 1D025190
	buffer_load_dwordx4 a[112:115], v60, s[24:27], 0 offen     // 00000000B1A0: E05C1000 8086703C
	v_mfma_f32_16x16x32_fp8_fp8 v[64:67], a[146:147], a[42:43], v[64:67]// 00000000B1A8: D3F30040 1D025592
	v_mfma_f32_16x16x32_fp8_fp8 v[64:67], a[148:149], a[44:45], v[64:67]// 00000000B1B0: D3F30040 1D025994
	v_mfma_f32_16x16x32_fp8_fp8 v[64:67], a[150:151], a[46:47], v[64:67]// 00000000B1B8: D3F30040 1D025D96
	v_mfma_f32_16x16x32_fp8_fp8 v[84:87], a[152:153], a[40:41], v[84:87]// 00000000B1C0: D3F30054 1D525198
	buffer_load_dwordx4 a[116:119], v60, s[24:27], 0 offen offset:1024// 00000000B1C8: E05C1400 8086743C
	v_mfma_f32_16x16x32_fp8_fp8 v[84:87], a[154:155], a[42:43], v[84:87]// 00000000B1D0: D3F30054 1D52559A
	v_mfma_f32_16x16x32_fp8_fp8 v[84:87], a[156:157], a[44:45], v[84:87]// 00000000B1D8: D3F30054 1D52599C
	v_mfma_f32_16x16x32_fp8_fp8 v[84:87], a[158:159], a[46:47], v[84:87]// 00000000B1E0: D3F30054 1D525D9E
	v_mfma_f32_16x16x32_fp8_fp8 v[104:107], a[160:161], a[40:41], v[104:107]// 00000000B1E8: D3F30068 1DA251A0
	buffer_load_dwordx4 a[120:123], v61, s[24:27], 0 offen     // 00000000B1F0: E05C1000 8086783D
	v_mfma_f32_16x16x32_fp8_fp8 v[104:107], a[162:163], a[42:43], v[104:107]// 00000000B1F8: D3F30068 1DA255A2
	v_mfma_f32_16x16x32_fp8_fp8 v[104:107], a[164:165], a[44:45], v[104:107]// 00000000B200: D3F30068 1DA259A4
	v_mfma_f32_16x16x32_fp8_fp8 v[104:107], a[166:167], a[46:47], v[104:107]// 00000000B208: D3F30068 1DA25DA6
	v_mfma_f32_16x16x32_fp8_fp8 v[124:127], a[168:169], a[40:41], v[124:127]// 00000000B210: D3F3007C 1DF251A8
	buffer_load_dwordx4 a[124:127], v61, s[24:27], 0 offen offset:1024// 00000000B218: E05C1400 80867C3D
	v_mfma_f32_16x16x32_fp8_fp8 v[124:127], a[170:171], a[42:43], v[124:127]// 00000000B220: D3F3007C 1DF255AA
	v_mfma_f32_16x16x32_fp8_fp8 v[124:127], a[172:173], a[44:45], v[124:127]// 00000000B228: D3F3007C 1DF259AC
	v_mfma_f32_16x16x32_fp8_fp8 v[124:127], a[174:175], a[46:47], v[124:127]// 00000000B230: D3F3007C 1DF25DAE
	v_mfma_f32_16x16x32_fp8_fp8 v[68:71], a[144:145], a[48:49], v[68:71]// 00000000B238: D3F30044 1D126190
	buffer_load_dwordx4 a[128:131], v62, s[24:27], 0 offen     // 00000000B240: E05C1000 8086803E
	v_mfma_f32_16x16x32_fp8_fp8 v[68:71], a[146:147], a[50:51], v[68:71]// 00000000B248: D3F30044 1D126592
	v_mfma_f32_16x16x32_fp8_fp8 v[68:71], a[148:149], a[52:53], v[68:71]// 00000000B250: D3F30044 1D126994
	v_mfma_f32_16x16x32_fp8_fp8 v[68:71], a[150:151], a[54:55], v[68:71]// 00000000B258: D3F30044 1D126D96
	v_mfma_f32_16x16x32_fp8_fp8 v[88:91], a[152:153], a[48:49], v[88:91]// 00000000B260: D3F30058 1D626198
	buffer_load_dwordx4 a[132:135], v62, s[24:27], 0 offen offset:1024// 00000000B268: E05C1400 8086843E
	v_mfma_f32_16x16x32_fp8_fp8 v[88:91], a[154:155], a[50:51], v[88:91]// 00000000B270: D3F30058 1D62659A
	v_mfma_f32_16x16x32_fp8_fp8 v[88:91], a[156:157], a[52:53], v[88:91]// 00000000B278: D3F30058 1D62699C
	v_mfma_f32_16x16x32_fp8_fp8 v[88:91], a[158:159], a[54:55], v[88:91]// 00000000B280: D3F30058 1D626D9E
	v_mfma_f32_16x16x32_fp8_fp8 v[108:111], a[160:161], a[48:49], v[108:111]// 00000000B288: D3F3006C 1DB261A0
	buffer_load_dwordx4 a[136:139], v63, s[24:27], 0 offen     // 00000000B290: E05C1000 8086883F
	v_mfma_f32_16x16x32_fp8_fp8 v[108:111], a[162:163], a[50:51], v[108:111]// 00000000B298: D3F3006C 1DB265A2
	v_mfma_f32_16x16x32_fp8_fp8 v[108:111], a[164:165], a[52:53], v[108:111]// 00000000B2A0: D3F3006C 1DB269A4
	v_mfma_f32_16x16x32_fp8_fp8 v[108:111], a[166:167], a[54:55], v[108:111]// 00000000B2A8: D3F3006C 1DB26DA6
	v_mfma_f32_16x16x32_fp8_fp8 v[128:131], a[168:169], a[48:49], v[128:131]// 00000000B2B0: D3F30080 1E0261A8
	buffer_load_dwordx4 a[140:143], v63, s[24:27], 0 offen offset:1024// 00000000B2B8: E05C1400 80868C3F
	buffer_load_dword v50, s[20:23], 0 offen lds               // 00000000B2C0: E0511000 80050032
	s_add_u32 m0, 0x100, s48                                   // 00000000B2C8: 807C30FF 00000100
	v_mfma_f32_16x16x32_fp8_fp8 v[128:131], a[170:171], a[50:51], v[128:131]// 00000000B2D0: D3F30080 1E0265AA
	v_mfma_f32_16x16x32_fp8_fp8 v[128:131], a[172:173], a[52:53], v[128:131]// 00000000B2D8: D3F30080 1E0269AC
	buffer_load_dword v51, s[20:23], 0 offen lds               // 00000000B2E0: E0511000 80050033
	s_add_u32 m0, 0x200, s48                                   // 00000000B2E8: 807C30FF 00000200
	v_mfma_f32_16x16x32_fp8_fp8 v[128:131], a[174:175], a[54:55], v[128:131]// 00000000B2F0: D3F30080 1E026DAE
	v_mfma_f32_16x16x32_fp8_fp8 v[72:75], a[144:145], a[56:57], v[72:75]// 00000000B2F8: D3F30048 1D227190
	buffer_load_dword v52, s[20:23], 0 offen lds               // 00000000B300: E0511000 80050034
	s_add_u32 m0, 0x300, s48                                   // 00000000B308: 807C30FF 00000300
	v_mfma_f32_16x16x32_fp8_fp8 v[72:75], a[146:147], a[58:59], v[72:75]// 00000000B310: D3F30048 1D227592
	v_mfma_f32_16x16x32_fp8_fp8 v[72:75], a[148:149], a[60:61], v[72:75]// 00000000B318: D3F30048 1D227994
	buffer_load_dword v53, s[20:23], 0 offen lds               // 00000000B320: E0511000 80050035
	s_add_u32 m0, 0x400, s48                                   // 00000000B328: 807C30FF 00000400
	v_mfma_f32_16x16x32_fp8_fp8 v[72:75], a[150:151], a[62:63], v[72:75]// 00000000B330: D3F30048 1D227D96
	v_mfma_f32_16x16x32_fp8_fp8 v[92:95], a[152:153], a[56:57], v[92:95]// 00000000B338: D3F3005C 1D727198
	buffer_load_dword v54, s[20:23], 0 offen lds               // 00000000B340: E0511000 80050036
	s_add_u32 m0, 0x500, s48                                   // 00000000B348: 807C30FF 00000500
	v_mfma_f32_16x16x32_fp8_fp8 v[92:95], a[154:155], a[58:59], v[92:95]// 00000000B350: D3F3005C 1D72759A
	v_mfma_f32_16x16x32_fp8_fp8 v[92:95], a[156:157], a[60:61], v[92:95]// 00000000B358: D3F3005C 1D72799C
	buffer_load_dword v55, s[20:23], 0 offen lds               // 00000000B360: E0511000 80050037
	s_add_u32 m0, 0x600, s48                                   // 00000000B368: 807C30FF 00000600
	v_mfma_f32_16x16x32_fp8_fp8 v[92:95], a[158:159], a[62:63], v[92:95]// 00000000B370: D3F3005C 1D727D9E
	v_mfma_f32_16x16x32_fp8_fp8 v[112:115], a[160:161], a[56:57], v[112:115]// 00000000B378: D3F30070 1DC271A0
	buffer_load_dword v56, s[20:23], 0 offen lds               // 00000000B380: E0511000 80050038
	s_add_u32 m0, 0x700, s48                                   // 00000000B388: 807C30FF 00000700
	v_mfma_f32_16x16x32_fp8_fp8 v[112:115], a[162:163], a[58:59], v[112:115]// 00000000B390: D3F30070 1DC275A2
	v_mfma_f32_16x16x32_fp8_fp8 v[112:115], a[164:165], a[60:61], v[112:115]// 00000000B398: D3F30070 1DC279A4
	buffer_load_dword v57, s[20:23], 0 offen lds               // 00000000B3A0: E0511000 80050039
	s_add_u32 m0, 0x800, s48                                   // 00000000B3A8: 807C30FF 00000800
	v_mfma_f32_16x16x32_fp8_fp8 v[112:115], a[166:167], a[62:63], v[112:115]// 00000000B3B0: D3F30070 1DC27DA6
	v_mfma_f32_16x16x32_fp8_fp8 v[132:135], a[168:169], a[56:57], v[132:135]// 00000000B3B8: D3F30084 1E1271A8
	buffer_load_dword v58, s[20:23], 0 offen lds               // 00000000B3C0: E0511000 8005003A
	s_add_u32 m0, 0x900, s48                                   // 00000000B3C8: 807C30FF 00000900
	v_mfma_f32_16x16x32_fp8_fp8 v[132:135], a[170:171], a[58:59], v[132:135]// 00000000B3D0: D3F30084 1E1275AA
	v_mfma_f32_16x16x32_fp8_fp8 v[132:135], a[172:173], a[60:61], v[132:135]// 00000000B3D8: D3F30084 1E1279AC
	buffer_load_dword v59, s[20:23], 0 offen lds               // 00000000B3E0: E0511000 8005003B
	s_add_u32 m0, 0, s49                                       // 00000000B3E8: 807C3180
	v_mfma_f32_16x16x32_fp8_fp8 v[132:135], a[174:175], a[62:63], v[132:135]// 00000000B3EC: D3F30084 1E127DAE
	v_mfma_f32_16x16x32_fp8_fp8 v[76:79], a[144:145], a[64:65], v[76:79]// 00000000B3F4: D3F3004C 1D328190
	v_mfma_f32_16x16x32_fp8_fp8 v[76:79], a[146:147], a[66:67], v[76:79]// 00000000B3FC: D3F3004C 1D328592
	v_mfma_f32_16x16x32_fp8_fp8 v[76:79], a[148:149], a[68:69], v[76:79]// 00000000B404: D3F3004C 1D328994
	v_mfma_f32_16x16x32_fp8_fp8 v[76:79], a[150:151], a[70:71], v[76:79]// 00000000B40C: D3F3004C 1D328D96
	v_mfma_f32_16x16x32_fp8_fp8 v[96:99], a[152:153], a[64:65], v[96:99]// 00000000B414: D3F30060 1D828198
	v_mfma_f32_16x16x32_fp8_fp8 v[96:99], a[154:155], a[66:67], v[96:99]// 00000000B41C: D3F30060 1D82859A
	v_mfma_f32_16x16x32_fp8_fp8 v[96:99], a[156:157], a[68:69], v[96:99]// 00000000B424: D3F30060 1D82899C
	v_mfma_f32_16x16x32_fp8_fp8 v[96:99], a[158:159], a[70:71], v[96:99]// 00000000B42C: D3F30060 1D828D9E
	v_mfma_f32_16x16x32_fp8_fp8 v[116:119], a[160:161], a[64:65], v[116:119]// 00000000B434: D3F30074 1DD281A0
	v_mfma_f32_16x16x32_fp8_fp8 v[116:119], a[162:163], a[66:67], v[116:119]// 00000000B43C: D3F30074 1DD285A2
	v_mfma_f32_16x16x32_fp8_fp8 v[116:119], a[164:165], a[68:69], v[116:119]// 00000000B444: D3F30074 1DD289A4
	v_mfma_f32_16x16x32_fp8_fp8 v[116:119], a[166:167], a[70:71], v[116:119]// 00000000B44C: D3F30074 1DD28DA6
	v_mfma_f32_16x16x32_fp8_fp8 v[136:139], a[168:169], a[64:65], v[136:139]// 00000000B454: D3F30088 1E2281A8
	v_mfma_f32_16x16x32_fp8_fp8 v[136:139], a[170:171], a[66:67], v[136:139]// 00000000B45C: D3F30088 1E2285AA
	v_mfma_f32_16x16x32_fp8_fp8 v[136:139], a[172:173], a[68:69], v[136:139]// 00000000B464: D3F30088 1E2289AC
	v_mfma_f32_16x16x32_fp8_fp8 v[136:139], a[174:175], a[70:71], v[136:139]// 00000000B46C: D3F30088 1E228DAE
	v_mfma_f32_16x16x32_fp8_fp8 v[80:83], a[144:145], a[72:73], v[80:83]// 00000000B474: D3F30050 1D429190
	v_mfma_f32_16x16x32_fp8_fp8 v[80:83], a[146:147], a[74:75], v[80:83]// 00000000B47C: D3F30050 1D429592
	v_mfma_f32_16x16x32_fp8_fp8 v[80:83], a[148:149], a[76:77], v[80:83]// 00000000B484: D3F30050 1D429994
	v_mfma_f32_16x16x32_fp8_fp8 v[80:83], a[150:151], a[78:79], v[80:83]// 00000000B48C: D3F30050 1D429D96
	v_mfma_f32_16x16x32_fp8_fp8 v[100:103], a[152:153], a[72:73], v[100:103]// 00000000B494: D3F30064 1D929198
	v_mfma_f32_16x16x32_fp8_fp8 v[100:103], a[154:155], a[74:75], v[100:103]// 00000000B49C: D3F30064 1D92959A
	v_mfma_f32_16x16x32_fp8_fp8 v[100:103], a[156:157], a[76:77], v[100:103]// 00000000B4A4: D3F30064 1D92999C
	v_mfma_f32_16x16x32_fp8_fp8 v[100:103], a[158:159], a[78:79], v[100:103]// 00000000B4AC: D3F30064 1D929D9E
	v_mfma_f32_16x16x32_fp8_fp8 v[120:123], a[160:161], a[72:73], v[120:123]// 00000000B4B4: D3F30078 1DE291A0
	v_mfma_f32_16x16x32_fp8_fp8 v[120:123], a[162:163], a[74:75], v[120:123]// 00000000B4BC: D3F30078 1DE295A2
	v_mfma_f32_16x16x32_fp8_fp8 v[120:123], a[164:165], a[76:77], v[120:123]// 00000000B4C4: D3F30078 1DE299A4
	v_mfma_f32_16x16x32_fp8_fp8 v[120:123], a[166:167], a[78:79], v[120:123]// 00000000B4CC: D3F30078 1DE29DA6
	v_mfma_f32_16x16x32_fp8_fp8 v[140:143], a[168:169], a[72:73], v[140:143]// 00000000B4D4: D3F3008C 1E3291A8
	v_mfma_f32_16x16x32_fp8_fp8 v[140:143], a[170:171], a[74:75], v[140:143]// 00000000B4DC: D3F3008C 1E3295AA
	v_mfma_f32_16x16x32_fp8_fp8 v[140:143], a[172:173], a[76:77], v[140:143]// 00000000B4E4: D3F3008C 1E3299AC
	v_mfma_f32_16x16x32_fp8_fp8 v[140:143], a[174:175], a[78:79], v[140:143]// 00000000B4EC: D3F3008C 1E329DAE
	s_waitcnt vmcnt(18)                                        // 00000000B4F4: BF8C4F72
	s_barrier                                                  // 00000000B4F8: BF8A0000
	v_mfma_f32_16x16x32_fp8_fp8 v[144:147], a[80:81], a[40:41], v[144:147]// 00000000B4FC: D3F30090 1E425150
	buffer_load_dwordx4 a[144:147], v60, s[84:87], 0 offen     // 00000000B504: E05C1000 8095903C
	v_mfma_f32_16x16x32_fp8_fp8 v[144:147], a[82:83], a[42:43], v[144:147]// 00000000B50C: D3F30090 1E425552
	v_mfma_f32_16x16x32_fp8_fp8 v[144:147], a[84:85], a[44:45], v[144:147]// 00000000B514: D3F30090 1E425954
	ds_read_b128 a[0:3], v2 offset:20736                       // 00000000B51C: DBFE5100 00000002
	ds_read_b128 a[4:7], v2 offset:20800                       // 00000000B524: DBFE5140 04000002
	v_mfma_f32_16x16x32_fp8_fp8 v[144:147], a[86:87], a[46:47], v[144:147]// 00000000B52C: D3F30090 1E425D56
	v_mfma_f32_16x16x32_fp8_fp8 v[164:167], a[88:89], a[40:41], v[164:167]// 00000000B534: D3F300A4 1E925158
	buffer_load_dwordx4 a[148:151], v60, s[84:87], 0 offen offset:1024// 00000000B53C: E05C1400 8095943C
	v_mfma_f32_16x16x32_fp8_fp8 v[164:167], a[90:91], a[42:43], v[164:167]// 00000000B544: D3F300A4 1E92555A
	v_mfma_f32_16x16x32_fp8_fp8 v[164:167], a[92:93], a[44:45], v[164:167]// 00000000B54C: D3F300A4 1E92595C
	ds_read_b128 a[8:11], v2 offset:21248                      // 00000000B554: DBFE5300 08000002
	ds_read_b128 a[12:15], v2 offset:21312                     // 00000000B55C: DBFE5340 0C000002
	v_mfma_f32_16x16x32_fp8_fp8 v[164:167], a[94:95], a[46:47], v[164:167]// 00000000B564: D3F300A4 1E925D5E
	v_mfma_f32_16x16x32_fp8_fp8 v[184:187], a[96:97], a[40:41], v[184:187]// 00000000B56C: D3F300B8 1EE25160
	buffer_load_dwordx4 a[152:155], v61, s[84:87], 0 offen     // 00000000B574: E05C1000 8095983D
	v_mfma_f32_16x16x32_fp8_fp8 v[184:187], a[98:99], a[42:43], v[184:187]// 00000000B57C: D3F300B8 1EE25562
	v_mfma_f32_16x16x32_fp8_fp8 v[184:187], a[100:101], a[44:45], v[184:187]// 00000000B584: D3F300B8 1EE25964
	ds_read_b128 a[16:19], v2 offset:21760                     // 00000000B58C: DBFE5500 10000002
	ds_read_b128 a[20:23], v2 offset:21824                     // 00000000B594: DBFE5540 14000002
	v_mfma_f32_16x16x32_fp8_fp8 v[184:187], a[102:103], a[46:47], v[184:187]// 00000000B59C: D3F300B8 1EE25D66
	v_mfma_f32_16x16x32_fp8_fp8 v[204:207], a[104:105], a[40:41], v[204:207]// 00000000B5A4: D3F300CC 1F325168
	buffer_load_dwordx4 a[156:159], v61, s[84:87], 0 offen offset:1024// 00000000B5AC: E05C1400 80959C3D
	v_mfma_f32_16x16x32_fp8_fp8 v[204:207], a[106:107], a[42:43], v[204:207]// 00000000B5B4: D3F300CC 1F32556A
	v_mfma_f32_16x16x32_fp8_fp8 v[204:207], a[108:109], a[44:45], v[204:207]// 00000000B5BC: D3F300CC 1F32596C
	ds_read_b128 a[24:27], v2 offset:22272                     // 00000000B5C4: DBFE5700 18000002
	ds_read_b128 a[28:31], v2 offset:22336                     // 00000000B5CC: DBFE5740 1C000002
	v_mfma_f32_16x16x32_fp8_fp8 v[204:207], a[110:111], a[46:47], v[204:207]// 00000000B5D4: D3F300CC 1F325D6E
	v_mfma_f32_16x16x32_fp8_fp8 v[148:151], a[80:81], a[48:49], v[148:151]// 00000000B5DC: D3F30094 1E526150
	buffer_load_dwordx4 a[160:163], v62, s[84:87], 0 offen     // 00000000B5E4: E05C1000 8095A03E
	v_mfma_f32_16x16x32_fp8_fp8 v[148:151], a[82:83], a[50:51], v[148:151]// 00000000B5EC: D3F30094 1E526552
	v_mfma_f32_16x16x32_fp8_fp8 v[148:151], a[84:85], a[52:53], v[148:151]// 00000000B5F4: D3F30094 1E526954
	ds_read_b128 a[32:35], v2 offset:22784                     // 00000000B5FC: DBFE5900 20000002
	ds_read_b128 a[36:39], v2 offset:22848                     // 00000000B604: DBFE5940 24000002
	v_mfma_f32_16x16x32_fp8_fp8 v[148:151], a[86:87], a[54:55], v[148:151]// 00000000B60C: D3F30094 1E526D56
	v_mfma_f32_16x16x32_fp8_fp8 v[168:171], a[88:89], a[48:49], v[168:171]// 00000000B614: D3F300A8 1EA26158
	buffer_load_dwordx4 a[164:167], v62, s[84:87], 0 offen offset:1024// 00000000B61C: E05C1400 8095A43E
	v_mfma_f32_16x16x32_fp8_fp8 v[168:171], a[90:91], a[50:51], v[168:171]// 00000000B624: D3F300A8 1EA2655A
	v_mfma_f32_16x16x32_fp8_fp8 v[168:171], a[92:93], a[52:53], v[168:171]// 00000000B62C: D3F300A8 1EA2695C
	v_mfma_f32_16x16x32_fp8_fp8 v[168:171], a[94:95], a[54:55], v[168:171]// 00000000B634: D3F300A8 1EA26D5E
	v_mfma_f32_16x16x32_fp8_fp8 v[188:191], a[96:97], a[48:49], v[188:191]// 00000000B63C: D3F300BC 1EF26160
	buffer_load_dwordx4 a[168:171], v63, s[84:87], 0 offen     // 00000000B644: E05C1000 8095A83F
	v_mfma_f32_16x16x32_fp8_fp8 v[188:191], a[98:99], a[50:51], v[188:191]// 00000000B64C: D3F300BC 1EF26562
	v_mfma_f32_16x16x32_fp8_fp8 v[188:191], a[100:101], a[52:53], v[188:191]// 00000000B654: D3F300BC 1EF26964
	v_mfma_f32_16x16x32_fp8_fp8 v[188:191], a[102:103], a[54:55], v[188:191]// 00000000B65C: D3F300BC 1EF26D66
	v_mfma_f32_16x16x32_fp8_fp8 v[208:211], a[104:105], a[48:49], v[208:211]// 00000000B664: D3F300D0 1F426168
	buffer_load_dwordx4 a[172:175], v63, s[84:87], 0 offen offset:1024// 00000000B66C: E05C1400 8095AC3F
	v_mfma_f32_16x16x32_fp8_fp8 v[208:211], a[106:107], a[50:51], v[208:211]// 00000000B674: D3F300D0 1F42656A
	v_mfma_f32_16x16x32_fp8_fp8 v[208:211], a[108:109], a[52:53], v[208:211]// 00000000B67C: D3F300D0 1F42696C
	v_mfma_f32_16x16x32_fp8_fp8 v[208:211], a[110:111], a[54:55], v[208:211]// 00000000B684: D3F300D0 1F426D6E
	v_mfma_f32_16x16x32_fp8_fp8 v[152:155], a[80:81], a[56:57], v[152:155]// 00000000B68C: D3F30098 1E627150
	v_mfma_f32_16x16x32_fp8_fp8 v[152:155], a[82:83], a[58:59], v[152:155]// 00000000B694: D3F30098 1E627552
	v_mfma_f32_16x16x32_fp8_fp8 v[152:155], a[84:85], a[60:61], v[152:155]// 00000000B69C: D3F30098 1E627954
	v_mfma_f32_16x16x32_fp8_fp8 v[152:155], a[86:87], a[62:63], v[152:155]// 00000000B6A4: D3F30098 1E627D56
	v_mfma_f32_16x16x32_fp8_fp8 v[172:175], a[88:89], a[56:57], v[172:175]// 00000000B6AC: D3F300AC 1EB27158
	v_mfma_f32_16x16x32_fp8_fp8 v[172:175], a[90:91], a[58:59], v[172:175]// 00000000B6B4: D3F300AC 1EB2755A
	v_mfma_f32_16x16x32_fp8_fp8 v[172:175], a[92:93], a[60:61], v[172:175]// 00000000B6BC: D3F300AC 1EB2795C
	v_mfma_f32_16x16x32_fp8_fp8 v[172:175], a[94:95], a[62:63], v[172:175]// 00000000B6C4: D3F300AC 1EB27D5E
	v_mfma_f32_16x16x32_fp8_fp8 v[192:195], a[96:97], a[56:57], v[192:195]// 00000000B6CC: D3F300C0 1F027160
	v_mfma_f32_16x16x32_fp8_fp8 v[192:195], a[98:99], a[58:59], v[192:195]// 00000000B6D4: D3F300C0 1F027562
	v_mfma_f32_16x16x32_fp8_fp8 v[192:195], a[100:101], a[60:61], v[192:195]// 00000000B6DC: D3F300C0 1F027964
	v_mfma_f32_16x16x32_fp8_fp8 v[192:195], a[102:103], a[62:63], v[192:195]// 00000000B6E4: D3F300C0 1F027D66
	v_mfma_f32_16x16x32_fp8_fp8 v[212:215], a[104:105], a[56:57], v[212:215]// 00000000B6EC: D3F300D4 1F527168
	v_mfma_f32_16x16x32_fp8_fp8 v[212:215], a[106:107], a[58:59], v[212:215]// 00000000B6F4: D3F300D4 1F52756A
	v_mfma_f32_16x16x32_fp8_fp8 v[212:215], a[108:109], a[60:61], v[212:215]// 00000000B6FC: D3F300D4 1F52796C
	v_mfma_f32_16x16x32_fp8_fp8 v[212:215], a[110:111], a[62:63], v[212:215]// 00000000B704: D3F300D4 1F527D6E
	v_mfma_f32_16x16x32_fp8_fp8 v[156:159], a[80:81], a[64:65], v[156:159]// 00000000B70C: D3F3009C 1E728150
	v_mfma_f32_16x16x32_fp8_fp8 v[156:159], a[82:83], a[66:67], v[156:159]// 00000000B714: D3F3009C 1E728552
	v_mfma_f32_16x16x32_fp8_fp8 v[156:159], a[84:85], a[68:69], v[156:159]// 00000000B71C: D3F3009C 1E728954
	v_mfma_f32_16x16x32_fp8_fp8 v[156:159], a[86:87], a[70:71], v[156:159]// 00000000B724: D3F3009C 1E728D56
	v_mfma_f32_16x16x32_fp8_fp8 v[176:179], a[88:89], a[64:65], v[176:179]// 00000000B72C: D3F300B0 1EC28158
	v_mfma_f32_16x16x32_fp8_fp8 v[176:179], a[90:91], a[66:67], v[176:179]// 00000000B734: D3F300B0 1EC2855A
	v_mfma_f32_16x16x32_fp8_fp8 v[176:179], a[92:93], a[68:69], v[176:179]// 00000000B73C: D3F300B0 1EC2895C
	v_mfma_f32_16x16x32_fp8_fp8 v[176:179], a[94:95], a[70:71], v[176:179]// 00000000B744: D3F300B0 1EC28D5E
	v_mfma_f32_16x16x32_fp8_fp8 v[196:199], a[96:97], a[64:65], v[196:199]// 00000000B74C: D3F300C4 1F128160
	v_mfma_f32_16x16x32_fp8_fp8 v[196:199], a[98:99], a[66:67], v[196:199]// 00000000B754: D3F300C4 1F128562
	v_mfma_f32_16x16x32_fp8_fp8 v[196:199], a[100:101], a[68:69], v[196:199]// 00000000B75C: D3F300C4 1F128964
	v_mfma_f32_16x16x32_fp8_fp8 v[196:199], a[102:103], a[70:71], v[196:199]// 00000000B764: D3F300C4 1F128D66
	v_mfma_f32_16x16x32_fp8_fp8 v[216:219], a[104:105], a[64:65], v[216:219]// 00000000B76C: D3F300D8 1F628168
	v_mfma_f32_16x16x32_fp8_fp8 v[216:219], a[106:107], a[66:67], v[216:219]// 00000000B774: D3F300D8 1F62856A
	v_mfma_f32_16x16x32_fp8_fp8 v[216:219], a[108:109], a[68:69], v[216:219]// 00000000B77C: D3F300D8 1F62896C
	v_mfma_f32_16x16x32_fp8_fp8 v[216:219], a[110:111], a[70:71], v[216:219]// 00000000B784: D3F300D8 1F628D6E
	v_mfma_f32_16x16x32_fp8_fp8 v[160:163], a[80:81], a[72:73], v[160:163]// 00000000B78C: D3F300A0 1E829150
	v_mfma_f32_16x16x32_fp8_fp8 v[160:163], a[82:83], a[74:75], v[160:163]// 00000000B794: D3F300A0 1E829552
	v_mfma_f32_16x16x32_fp8_fp8 v[160:163], a[84:85], a[76:77], v[160:163]// 00000000B79C: D3F300A0 1E829954
	v_mfma_f32_16x16x32_fp8_fp8 v[160:163], a[86:87], a[78:79], v[160:163]// 00000000B7A4: D3F300A0 1E829D56
	v_mfma_f32_16x16x32_fp8_fp8 v[180:183], a[88:89], a[72:73], v[180:183]// 00000000B7AC: D3F300B4 1ED29158
	v_mfma_f32_16x16x32_fp8_fp8 v[180:183], a[90:91], a[74:75], v[180:183]// 00000000B7B4: D3F300B4 1ED2955A
	v_mfma_f32_16x16x32_fp8_fp8 v[180:183], a[92:93], a[76:77], v[180:183]// 00000000B7BC: D3F300B4 1ED2995C
	v_mfma_f32_16x16x32_fp8_fp8 v[180:183], a[94:95], a[78:79], v[180:183]// 00000000B7C4: D3F300B4 1ED29D5E
	v_mfma_f32_16x16x32_fp8_fp8 v[200:203], a[96:97], a[72:73], v[200:203]// 00000000B7CC: D3F300C8 1F229160
	s_add_u32 s60, 0x180, s80                                  // 00000000B7D4: 803C50FF 00000180
	s_cmp_lt_u32 s60, s81                                      // 00000000B7DC: BF0A513C
	s_cselect_b32 s57, s57, 0                                  // 00000000B7E0: 85398039
	v_mfma_f32_16x16x32_fp8_fp8 v[200:203], a[98:99], a[74:75], v[200:203]// 00000000B7E4: D3F300C8 1F229562
	s_add_u32 s60, 0x100, s80                                  // 00000000B7EC: 803C50FF 00000100
	s_cmp_lt_u32 s60, s81                                      // 00000000B7F4: BF0A513C
	s_cselect_b32 s58, s58, 0                                  // 00000000B7F8: 853A803A
	v_mfma_f32_16x16x32_fp8_fp8 v[200:203], a[100:101], a[76:77], v[200:203]// 00000000B7FC: D3F300C8 1F229964
	s_add_u32 s60, 0x100, s80                                  // 00000000B804: 803C50FF 00000100
	s_cmp_lt_u32 s60, s81                                      // 00000000B80C: BF0A513C
	s_cselect_b32 s83, s83, 0                                  // 00000000B810: 85538053
	v_mfma_f32_16x16x32_fp8_fp8 v[200:203], a[102:103], a[78:79], v[200:203]// 00000000B814: D3F300C8 1F229D66
	s_add_u32 s24, s58, s24                                    // 00000000B81C: 8018183A
	s_addc_u32 s25, 0, s25                                     // 00000000B820: 82191980
	v_mfma_f32_16x16x32_fp8_fp8 v[220:223], a[104:105], a[72:73], v[220:223]// 00000000B824: D3F300DC 1F729168
	s_add_u32 s20, s57, s20                                    // 00000000B82C: 80141439
	s_addc_u32 s21, 0, s21                                     // 00000000B830: 82151580
	v_mfma_f32_16x16x32_fp8_fp8 v[220:223], a[106:107], a[74:75], v[220:223]// 00000000B834: D3F300DC 1F72956A
	s_add_u32 s84, s83, s84                                    // 00000000B83C: 80545453
	s_addc_u32 s85, 0, s85                                     // 00000000B840: 82555580
	v_mfma_f32_16x16x32_fp8_fp8 v[220:223], a[108:109], a[76:77], v[220:223]// 00000000B844: D3F300DC 1F72996C
	v_mfma_f32_16x16x32_fp8_fp8 v[220:223], a[110:111], a[78:79], v[220:223]// 00000000B84C: D3F300DC 1F729D6E
	s_addk_i32 s80, 0x80                                       // 00000000B854: B7500080
	s_cmp_lt_i32 s80, s81                                      // 00000000B858: BF045150
	s_cbranch_scc0 label_2A68                                  // 00000000B85C: BF8406CD
	s_waitcnt vmcnt(18) lgkmcnt(0)                             // 00000000B860: BF8C4072
	v_mfma_f32_16x16x32_fp8_fp8 v[64:67], a[112:113], a[0:1], v[64:67]// 00000000B864: D3F30040 1D020170
	buffer_load_dwordx4 a[80:83], v60, s[24:27], 0 offen       // 00000000B86C: E05C1000 8086503C
	v_mfma_f32_16x16x32_fp8_fp8 v[64:67], a[114:115], a[2:3], v[64:67]// 00000000B874: D3F30040 1D020572
	v_mfma_f32_16x16x32_fp8_fp8 v[64:67], a[116:117], a[4:5], v[64:67]// 00000000B87C: D3F30040 1D020974
	v_mfma_f32_16x16x32_fp8_fp8 v[64:67], a[118:119], a[6:7], v[64:67]// 00000000B884: D3F30040 1D020D76
	v_mfma_f32_16x16x32_fp8_fp8 v[84:87], a[120:121], a[0:1], v[84:87]// 00000000B88C: D3F30054 1D520178
	buffer_load_dwordx4 a[84:87], v60, s[24:27], 0 offen offset:1024// 00000000B894: E05C1400 8086543C
	v_mfma_f32_16x16x32_fp8_fp8 v[84:87], a[122:123], a[2:3], v[84:87]// 00000000B89C: D3F30054 1D52057A
	v_mfma_f32_16x16x32_fp8_fp8 v[84:87], a[124:125], a[4:5], v[84:87]// 00000000B8A4: D3F30054 1D52097C
	v_mfma_f32_16x16x32_fp8_fp8 v[84:87], a[126:127], a[6:7], v[84:87]// 00000000B8AC: D3F30054 1D520D7E
	v_mfma_f32_16x16x32_fp8_fp8 v[104:107], a[128:129], a[0:1], v[104:107]// 00000000B8B4: D3F30068 1DA20180
	buffer_load_dwordx4 a[88:91], v61, s[24:27], 0 offen       // 00000000B8BC: E05C1000 8086583D
	v_mfma_f32_16x16x32_fp8_fp8 v[104:107], a[130:131], a[2:3], v[104:107]// 00000000B8C4: D3F30068 1DA20582
	v_mfma_f32_16x16x32_fp8_fp8 v[104:107], a[132:133], a[4:5], v[104:107]// 00000000B8CC: D3F30068 1DA20984
	v_mfma_f32_16x16x32_fp8_fp8 v[104:107], a[134:135], a[6:7], v[104:107]// 00000000B8D4: D3F30068 1DA20D86
	v_mfma_f32_16x16x32_fp8_fp8 v[124:127], a[136:137], a[0:1], v[124:127]// 00000000B8DC: D3F3007C 1DF20188
	buffer_load_dwordx4 a[92:95], v61, s[24:27], 0 offen offset:1024// 00000000B8E4: E05C1400 80865C3D
	v_mfma_f32_16x16x32_fp8_fp8 v[124:127], a[138:139], a[2:3], v[124:127]// 00000000B8EC: D3F3007C 1DF2058A
	v_mfma_f32_16x16x32_fp8_fp8 v[124:127], a[140:141], a[4:5], v[124:127]// 00000000B8F4: D3F3007C 1DF2098C
	v_mfma_f32_16x16x32_fp8_fp8 v[124:127], a[142:143], a[6:7], v[124:127]// 00000000B8FC: D3F3007C 1DF20D8E
	v_mfma_f32_16x16x32_fp8_fp8 v[68:71], a[112:113], a[8:9], v[68:71]// 00000000B904: D3F30044 1D121170
	buffer_load_dwordx4 a[96:99], v62, s[24:27], 0 offen       // 00000000B90C: E05C1000 8086603E
	v_mfma_f32_16x16x32_fp8_fp8 v[68:71], a[114:115], a[10:11], v[68:71]// 00000000B914: D3F30044 1D121572
	v_mfma_f32_16x16x32_fp8_fp8 v[68:71], a[116:117], a[12:13], v[68:71]// 00000000B91C: D3F30044 1D121974
	v_mfma_f32_16x16x32_fp8_fp8 v[68:71], a[118:119], a[14:15], v[68:71]// 00000000B924: D3F30044 1D121D76
	v_mfma_f32_16x16x32_fp8_fp8 v[88:91], a[120:121], a[8:9], v[88:91]// 00000000B92C: D3F30058 1D621178
	buffer_load_dwordx4 a[100:103], v62, s[24:27], 0 offen offset:1024// 00000000B934: E05C1400 8086643E
	v_mfma_f32_16x16x32_fp8_fp8 v[88:91], a[122:123], a[10:11], v[88:91]// 00000000B93C: D3F30058 1D62157A
	v_mfma_f32_16x16x32_fp8_fp8 v[88:91], a[124:125], a[12:13], v[88:91]// 00000000B944: D3F30058 1D62197C
	v_mfma_f32_16x16x32_fp8_fp8 v[88:91], a[126:127], a[14:15], v[88:91]// 00000000B94C: D3F30058 1D621D7E
	v_mfma_f32_16x16x32_fp8_fp8 v[108:111], a[128:129], a[8:9], v[108:111]// 00000000B954: D3F3006C 1DB21180
	buffer_load_dwordx4 a[104:107], v63, s[24:27], 0 offen     // 00000000B95C: E05C1000 8086683F
	v_mfma_f32_16x16x32_fp8_fp8 v[108:111], a[130:131], a[10:11], v[108:111]// 00000000B964: D3F3006C 1DB21582
	v_mfma_f32_16x16x32_fp8_fp8 v[108:111], a[132:133], a[12:13], v[108:111]// 00000000B96C: D3F3006C 1DB21984
	v_mfma_f32_16x16x32_fp8_fp8 v[108:111], a[134:135], a[14:15], v[108:111]// 00000000B974: D3F3006C 1DB21D86
	v_mfma_f32_16x16x32_fp8_fp8 v[128:131], a[136:137], a[8:9], v[128:131]// 00000000B97C: D3F30080 1E021188
	buffer_load_dwordx4 a[108:111], v63, s[24:27], 0 offen offset:1024// 00000000B984: E05C1400 80866C3F
	buffer_load_dword v50, s[20:23], 0 offen lds               // 00000000B98C: E0511000 80050032
	s_add_u32 m0, 0x100, s49                                   // 00000000B994: 807C31FF 00000100
	v_mfma_f32_16x16x32_fp8_fp8 v[128:131], a[138:139], a[10:11], v[128:131]// 00000000B99C: D3F30080 1E02158A
	v_mfma_f32_16x16x32_fp8_fp8 v[128:131], a[140:141], a[12:13], v[128:131]// 00000000B9A4: D3F30080 1E02198C
	buffer_load_dword v51, s[20:23], 0 offen lds               // 00000000B9AC: E0511000 80050033
	s_add_u32 m0, 0x200, s49                                   // 00000000B9B4: 807C31FF 00000200
	v_mfma_f32_16x16x32_fp8_fp8 v[128:131], a[142:143], a[14:15], v[128:131]// 00000000B9BC: D3F30080 1E021D8E
	v_mfma_f32_16x16x32_fp8_fp8 v[72:75], a[112:113], a[16:17], v[72:75]// 00000000B9C4: D3F30048 1D222170
	buffer_load_dword v52, s[20:23], 0 offen lds               // 00000000B9CC: E0511000 80050034
	s_add_u32 m0, 0x300, s49                                   // 00000000B9D4: 807C31FF 00000300
	v_mfma_f32_16x16x32_fp8_fp8 v[72:75], a[114:115], a[18:19], v[72:75]// 00000000B9DC: D3F30048 1D222572
	v_mfma_f32_16x16x32_fp8_fp8 v[72:75], a[116:117], a[20:21], v[72:75]// 00000000B9E4: D3F30048 1D222974
	buffer_load_dword v53, s[20:23], 0 offen lds               // 00000000B9EC: E0511000 80050035
	s_add_u32 m0, 0x400, s49                                   // 00000000B9F4: 807C31FF 00000400
	v_mfma_f32_16x16x32_fp8_fp8 v[72:75], a[118:119], a[22:23], v[72:75]// 00000000B9FC: D3F30048 1D222D76
	v_mfma_f32_16x16x32_fp8_fp8 v[92:95], a[120:121], a[16:17], v[92:95]// 00000000BA04: D3F3005C 1D722178
	buffer_load_dword v54, s[20:23], 0 offen lds               // 00000000BA0C: E0511000 80050036
	s_add_u32 m0, 0x500, s49                                   // 00000000BA14: 807C31FF 00000500
	v_mfma_f32_16x16x32_fp8_fp8 v[92:95], a[122:123], a[18:19], v[92:95]// 00000000BA1C: D3F3005C 1D72257A
	v_mfma_f32_16x16x32_fp8_fp8 v[92:95], a[124:125], a[20:21], v[92:95]// 00000000BA24: D3F3005C 1D72297C
	buffer_load_dword v55, s[20:23], 0 offen lds               // 00000000BA2C: E0511000 80050037
	s_add_u32 m0, 0x600, s49                                   // 00000000BA34: 807C31FF 00000600
	v_mfma_f32_16x16x32_fp8_fp8 v[92:95], a[126:127], a[22:23], v[92:95]// 00000000BA3C: D3F3005C 1D722D7E
	v_mfma_f32_16x16x32_fp8_fp8 v[112:115], a[128:129], a[16:17], v[112:115]// 00000000BA44: D3F30070 1DC22180
	buffer_load_dword v56, s[20:23], 0 offen lds               // 00000000BA4C: E0511000 80050038
	s_add_u32 m0, 0x700, s49                                   // 00000000BA54: 807C31FF 00000700
	v_mfma_f32_16x16x32_fp8_fp8 v[112:115], a[130:131], a[18:19], v[112:115]// 00000000BA5C: D3F30070 1DC22582
	v_mfma_f32_16x16x32_fp8_fp8 v[112:115], a[132:133], a[20:21], v[112:115]// 00000000BA64: D3F30070 1DC22984
	buffer_load_dword v57, s[20:23], 0 offen lds               // 00000000BA6C: E0511000 80050039
	s_add_u32 m0, 0x800, s49                                   // 00000000BA74: 807C31FF 00000800
	v_mfma_f32_16x16x32_fp8_fp8 v[112:115], a[134:135], a[22:23], v[112:115]// 00000000BA7C: D3F30070 1DC22D86
	v_mfma_f32_16x16x32_fp8_fp8 v[132:135], a[136:137], a[16:17], v[132:135]// 00000000BA84: D3F30084 1E122188
	buffer_load_dword v58, s[20:23], 0 offen lds               // 00000000BA8C: E0511000 8005003A
	s_add_u32 m0, 0x900, s49                                   // 00000000BA94: 807C31FF 00000900
	v_mfma_f32_16x16x32_fp8_fp8 v[132:135], a[138:139], a[18:19], v[132:135]// 00000000BA9C: D3F30084 1E12258A
	v_mfma_f32_16x16x32_fp8_fp8 v[132:135], a[140:141], a[20:21], v[132:135]// 00000000BAA4: D3F30084 1E12298C
	buffer_load_dword v59, s[20:23], 0 offen lds               // 00000000BAAC: E0511000 8005003B
	s_add_u32 m0, 0, s50                                       // 00000000BAB4: 807C3280
	v_mfma_f32_16x16x32_fp8_fp8 v[132:135], a[142:143], a[22:23], v[132:135]// 00000000BAB8: D3F30084 1E122D8E
	v_mfma_f32_16x16x32_fp8_fp8 v[76:79], a[112:113], a[24:25], v[76:79]// 00000000BAC0: D3F3004C 1D323170
	v_mfma_f32_16x16x32_fp8_fp8 v[76:79], a[114:115], a[26:27], v[76:79]// 00000000BAC8: D3F3004C 1D323572
	v_mfma_f32_16x16x32_fp8_fp8 v[76:79], a[116:117], a[28:29], v[76:79]// 00000000BAD0: D3F3004C 1D323974
	v_mfma_f32_16x16x32_fp8_fp8 v[76:79], a[118:119], a[30:31], v[76:79]// 00000000BAD8: D3F3004C 1D323D76
	v_mfma_f32_16x16x32_fp8_fp8 v[96:99], a[120:121], a[24:25], v[96:99]// 00000000BAE0: D3F30060 1D823178
	v_mfma_f32_16x16x32_fp8_fp8 v[96:99], a[122:123], a[26:27], v[96:99]// 00000000BAE8: D3F30060 1D82357A
	v_mfma_f32_16x16x32_fp8_fp8 v[96:99], a[124:125], a[28:29], v[96:99]// 00000000BAF0: D3F30060 1D82397C
	v_mfma_f32_16x16x32_fp8_fp8 v[96:99], a[126:127], a[30:31], v[96:99]// 00000000BAF8: D3F30060 1D823D7E
	v_mfma_f32_16x16x32_fp8_fp8 v[116:119], a[128:129], a[24:25], v[116:119]// 00000000BB00: D3F30074 1DD23180
	v_mfma_f32_16x16x32_fp8_fp8 v[116:119], a[130:131], a[26:27], v[116:119]// 00000000BB08: D3F30074 1DD23582
	v_mfma_f32_16x16x32_fp8_fp8 v[116:119], a[132:133], a[28:29], v[116:119]// 00000000BB10: D3F30074 1DD23984
	v_mfma_f32_16x16x32_fp8_fp8 v[116:119], a[134:135], a[30:31], v[116:119]// 00000000BB18: D3F30074 1DD23D86
	v_mfma_f32_16x16x32_fp8_fp8 v[136:139], a[136:137], a[24:25], v[136:139]// 00000000BB20: D3F30088 1E223188
	v_mfma_f32_16x16x32_fp8_fp8 v[136:139], a[138:139], a[26:27], v[136:139]// 00000000BB28: D3F30088 1E22358A
	v_mfma_f32_16x16x32_fp8_fp8 v[136:139], a[140:141], a[28:29], v[136:139]// 00000000BB30: D3F30088 1E22398C
	v_mfma_f32_16x16x32_fp8_fp8 v[136:139], a[142:143], a[30:31], v[136:139]// 00000000BB38: D3F30088 1E223D8E
	v_mfma_f32_16x16x32_fp8_fp8 v[80:83], a[112:113], a[32:33], v[80:83]// 00000000BB40: D3F30050 1D424170
	v_mfma_f32_16x16x32_fp8_fp8 v[80:83], a[114:115], a[34:35], v[80:83]// 00000000BB48: D3F30050 1D424572
	v_mfma_f32_16x16x32_fp8_fp8 v[80:83], a[116:117], a[36:37], v[80:83]// 00000000BB50: D3F30050 1D424974
	v_mfma_f32_16x16x32_fp8_fp8 v[80:83], a[118:119], a[38:39], v[80:83]// 00000000BB58: D3F30050 1D424D76
	v_mfma_f32_16x16x32_fp8_fp8 v[100:103], a[120:121], a[32:33], v[100:103]// 00000000BB60: D3F30064 1D924178
	v_mfma_f32_16x16x32_fp8_fp8 v[100:103], a[122:123], a[34:35], v[100:103]// 00000000BB68: D3F30064 1D92457A
	v_mfma_f32_16x16x32_fp8_fp8 v[100:103], a[124:125], a[36:37], v[100:103]// 00000000BB70: D3F30064 1D92497C
	v_mfma_f32_16x16x32_fp8_fp8 v[100:103], a[126:127], a[38:39], v[100:103]// 00000000BB78: D3F30064 1D924D7E
	v_mfma_f32_16x16x32_fp8_fp8 v[120:123], a[128:129], a[32:33], v[120:123]// 00000000BB80: D3F30078 1DE24180
	v_mfma_f32_16x16x32_fp8_fp8 v[120:123], a[130:131], a[34:35], v[120:123]// 00000000BB88: D3F30078 1DE24582
	v_mfma_f32_16x16x32_fp8_fp8 v[120:123], a[132:133], a[36:37], v[120:123]// 00000000BB90: D3F30078 1DE24984
	v_mfma_f32_16x16x32_fp8_fp8 v[120:123], a[134:135], a[38:39], v[120:123]// 00000000BB98: D3F30078 1DE24D86
	v_mfma_f32_16x16x32_fp8_fp8 v[140:143], a[136:137], a[32:33], v[140:143]// 00000000BBA0: D3F3008C 1E324188
	v_mfma_f32_16x16x32_fp8_fp8 v[140:143], a[138:139], a[34:35], v[140:143]// 00000000BBA8: D3F3008C 1E32458A
	v_mfma_f32_16x16x32_fp8_fp8 v[140:143], a[140:141], a[36:37], v[140:143]// 00000000BBB0: D3F3008C 1E32498C
	v_mfma_f32_16x16x32_fp8_fp8 v[140:143], a[142:143], a[38:39], v[140:143]// 00000000BBB8: D3F3008C 1E324D8E
	s_waitcnt vmcnt(18)                                        // 00000000BBC0: BF8C4F72
	s_barrier                                                  // 00000000BBC4: BF8A0000
	v_mfma_f32_16x16x32_fp8_fp8 v[144:147], a[144:145], a[0:1], v[144:147]// 00000000BBC8: D3F30090 1E420190
	buffer_load_dwordx4 a[112:115], v60, s[84:87], 0 offen     // 00000000BBD0: E05C1000 8095703C
	v_mfma_f32_16x16x32_fp8_fp8 v[144:147], a[146:147], a[2:3], v[144:147]// 00000000BBD8: D3F30090 1E420592
	v_mfma_f32_16x16x32_fp8_fp8 v[144:147], a[148:149], a[4:5], v[144:147]// 00000000BBE0: D3F30090 1E420994
	ds_read_b128 a[40:43], v2                                  // 00000000BBE8: DBFE0000 28000002
	ds_read_b128 a[44:47], v2 offset:64                        // 00000000BBF0: DBFE0040 2C000002
	v_mfma_f32_16x16x32_fp8_fp8 v[144:147], a[150:151], a[6:7], v[144:147]// 00000000BBF8: D3F30090 1E420D96
	v_mfma_f32_16x16x32_fp8_fp8 v[164:167], a[152:153], a[0:1], v[164:167]// 00000000BC00: D3F300A4 1E920198
	buffer_load_dwordx4 a[116:119], v60, s[84:87], 0 offen offset:1024// 00000000BC08: E05C1400 8095743C
	v_mfma_f32_16x16x32_fp8_fp8 v[164:167], a[154:155], a[2:3], v[164:167]// 00000000BC10: D3F300A4 1E92059A
	v_mfma_f32_16x16x32_fp8_fp8 v[164:167], a[156:157], a[4:5], v[164:167]// 00000000BC18: D3F300A4 1E92099C
	ds_read_b128 a[48:51], v2 offset:512                       // 00000000BC20: DBFE0200 30000002
	ds_read_b128 a[52:55], v2 offset:576                       // 00000000BC28: DBFE0240 34000002
	v_mfma_f32_16x16x32_fp8_fp8 v[164:167], a[158:159], a[6:7], v[164:167]// 00000000BC30: D3F300A4 1E920D9E
	v_mfma_f32_16x16x32_fp8_fp8 v[184:187], a[160:161], a[0:1], v[184:187]// 00000000BC38: D3F300B8 1EE201A0
	buffer_load_dwordx4 a[120:123], v61, s[84:87], 0 offen     // 00000000BC40: E05C1000 8095783D
	v_mfma_f32_16x16x32_fp8_fp8 v[184:187], a[162:163], a[2:3], v[184:187]// 00000000BC48: D3F300B8 1EE205A2
	v_mfma_f32_16x16x32_fp8_fp8 v[184:187], a[164:165], a[4:5], v[184:187]// 00000000BC50: D3F300B8 1EE209A4
	ds_read_b128 a[56:59], v2 offset:1024                      // 00000000BC58: DBFE0400 38000002
	ds_read_b128 a[60:63], v2 offset:1088                      // 00000000BC60: DBFE0440 3C000002
	v_mfma_f32_16x16x32_fp8_fp8 v[184:187], a[166:167], a[6:7], v[184:187]// 00000000BC68: D3F300B8 1EE20DA6
	v_mfma_f32_16x16x32_fp8_fp8 v[204:207], a[168:169], a[0:1], v[204:207]// 00000000BC70: D3F300CC 1F3201A8
	buffer_load_dwordx4 a[124:127], v61, s[84:87], 0 offen offset:1024// 00000000BC78: E05C1400 80957C3D
	v_mfma_f32_16x16x32_fp8_fp8 v[204:207], a[170:171], a[2:3], v[204:207]// 00000000BC80: D3F300CC 1F3205AA
	v_mfma_f32_16x16x32_fp8_fp8 v[204:207], a[172:173], a[4:5], v[204:207]// 00000000BC88: D3F300CC 1F3209AC
	ds_read_b128 a[64:67], v2 offset:1536                      // 00000000BC90: DBFE0600 40000002
	ds_read_b128 a[68:71], v2 offset:1600                      // 00000000BC98: DBFE0640 44000002
	v_mfma_f32_16x16x32_fp8_fp8 v[204:207], a[174:175], a[6:7], v[204:207]// 00000000BCA0: D3F300CC 1F320DAE
	v_mfma_f32_16x16x32_fp8_fp8 v[148:151], a[144:145], a[8:9], v[148:151]// 00000000BCA8: D3F30094 1E521190
	buffer_load_dwordx4 a[128:131], v62, s[84:87], 0 offen     // 00000000BCB0: E05C1000 8095803E
	v_mfma_f32_16x16x32_fp8_fp8 v[148:151], a[146:147], a[10:11], v[148:151]// 00000000BCB8: D3F30094 1E521592
	v_mfma_f32_16x16x32_fp8_fp8 v[148:151], a[148:149], a[12:13], v[148:151]// 00000000BCC0: D3F30094 1E521994
	ds_read_b128 a[72:75], v2 offset:2048                      // 00000000BCC8: DBFE0800 48000002
	ds_read_b128 a[76:79], v2 offset:2112                      // 00000000BCD0: DBFE0840 4C000002
	v_mfma_f32_16x16x32_fp8_fp8 v[148:151], a[150:151], a[14:15], v[148:151]// 00000000BCD8: D3F30094 1E521D96
	v_mfma_f32_16x16x32_fp8_fp8 v[168:171], a[152:153], a[8:9], v[168:171]// 00000000BCE0: D3F300A8 1EA21198
	buffer_load_dwordx4 a[132:135], v62, s[84:87], 0 offen offset:1024// 00000000BCE8: E05C1400 8095843E
	v_mfma_f32_16x16x32_fp8_fp8 v[168:171], a[154:155], a[10:11], v[168:171]// 00000000BCF0: D3F300A8 1EA2159A
	v_mfma_f32_16x16x32_fp8_fp8 v[168:171], a[156:157], a[12:13], v[168:171]// 00000000BCF8: D3F300A8 1EA2199C
	v_mfma_f32_16x16x32_fp8_fp8 v[168:171], a[158:159], a[14:15], v[168:171]// 00000000BD00: D3F300A8 1EA21D9E
	v_mfma_f32_16x16x32_fp8_fp8 v[188:191], a[160:161], a[8:9], v[188:191]// 00000000BD08: D3F300BC 1EF211A0
	buffer_load_dwordx4 a[136:139], v63, s[84:87], 0 offen     // 00000000BD10: E05C1000 8095883F
	v_mfma_f32_16x16x32_fp8_fp8 v[188:191], a[162:163], a[10:11], v[188:191]// 00000000BD18: D3F300BC 1EF215A2
	v_mfma_f32_16x16x32_fp8_fp8 v[188:191], a[164:165], a[12:13], v[188:191]// 00000000BD20: D3F300BC 1EF219A4
	v_mfma_f32_16x16x32_fp8_fp8 v[188:191], a[166:167], a[14:15], v[188:191]// 00000000BD28: D3F300BC 1EF21DA6
	v_mfma_f32_16x16x32_fp8_fp8 v[208:211], a[168:169], a[8:9], v[208:211]// 00000000BD30: D3F300D0 1F4211A8
	buffer_load_dwordx4 a[140:143], v63, s[84:87], 0 offen offset:1024// 00000000BD38: E05C1400 80958C3F
	v_mfma_f32_16x16x32_fp8_fp8 v[208:211], a[170:171], a[10:11], v[208:211]// 00000000BD40: D3F300D0 1F4215AA
	v_mfma_f32_16x16x32_fp8_fp8 v[208:211], a[172:173], a[12:13], v[208:211]// 00000000BD48: D3F300D0 1F4219AC
	v_mfma_f32_16x16x32_fp8_fp8 v[208:211], a[174:175], a[14:15], v[208:211]// 00000000BD50: D3F300D0 1F421DAE
	v_mfma_f32_16x16x32_fp8_fp8 v[152:155], a[144:145], a[16:17], v[152:155]// 00000000BD58: D3F30098 1E622190
	v_mfma_f32_16x16x32_fp8_fp8 v[152:155], a[146:147], a[18:19], v[152:155]// 00000000BD60: D3F30098 1E622592
	v_mfma_f32_16x16x32_fp8_fp8 v[152:155], a[148:149], a[20:21], v[152:155]// 00000000BD68: D3F30098 1E622994
	v_mfma_f32_16x16x32_fp8_fp8 v[152:155], a[150:151], a[22:23], v[152:155]// 00000000BD70: D3F30098 1E622D96
	v_mfma_f32_16x16x32_fp8_fp8 v[172:175], a[152:153], a[16:17], v[172:175]// 00000000BD78: D3F300AC 1EB22198
	v_mfma_f32_16x16x32_fp8_fp8 v[172:175], a[154:155], a[18:19], v[172:175]// 00000000BD80: D3F300AC 1EB2259A
	v_mfma_f32_16x16x32_fp8_fp8 v[172:175], a[156:157], a[20:21], v[172:175]// 00000000BD88: D3F300AC 1EB2299C
	v_mfma_f32_16x16x32_fp8_fp8 v[172:175], a[158:159], a[22:23], v[172:175]// 00000000BD90: D3F300AC 1EB22D9E
	v_mfma_f32_16x16x32_fp8_fp8 v[192:195], a[160:161], a[16:17], v[192:195]// 00000000BD98: D3F300C0 1F0221A0
	v_mfma_f32_16x16x32_fp8_fp8 v[192:195], a[162:163], a[18:19], v[192:195]// 00000000BDA0: D3F300C0 1F0225A2
	v_mfma_f32_16x16x32_fp8_fp8 v[192:195], a[164:165], a[20:21], v[192:195]// 00000000BDA8: D3F300C0 1F0229A4
	v_mfma_f32_16x16x32_fp8_fp8 v[192:195], a[166:167], a[22:23], v[192:195]// 00000000BDB0: D3F300C0 1F022DA6
	v_mfma_f32_16x16x32_fp8_fp8 v[212:215], a[168:169], a[16:17], v[212:215]// 00000000BDB8: D3F300D4 1F5221A8
	v_mfma_f32_16x16x32_fp8_fp8 v[212:215], a[170:171], a[18:19], v[212:215]// 00000000BDC0: D3F300D4 1F5225AA
	v_mfma_f32_16x16x32_fp8_fp8 v[212:215], a[172:173], a[20:21], v[212:215]// 00000000BDC8: D3F300D4 1F5229AC
	v_mfma_f32_16x16x32_fp8_fp8 v[212:215], a[174:175], a[22:23], v[212:215]// 00000000BDD0: D3F300D4 1F522DAE
	v_mfma_f32_16x16x32_fp8_fp8 v[156:159], a[144:145], a[24:25], v[156:159]// 00000000BDD8: D3F3009C 1E723190
	v_mfma_f32_16x16x32_fp8_fp8 v[156:159], a[146:147], a[26:27], v[156:159]// 00000000BDE0: D3F3009C 1E723592
	v_mfma_f32_16x16x32_fp8_fp8 v[156:159], a[148:149], a[28:29], v[156:159]// 00000000BDE8: D3F3009C 1E723994
	v_mfma_f32_16x16x32_fp8_fp8 v[156:159], a[150:151], a[30:31], v[156:159]// 00000000BDF0: D3F3009C 1E723D96
	v_mfma_f32_16x16x32_fp8_fp8 v[176:179], a[152:153], a[24:25], v[176:179]// 00000000BDF8: D3F300B0 1EC23198
	v_mfma_f32_16x16x32_fp8_fp8 v[176:179], a[154:155], a[26:27], v[176:179]// 00000000BE00: D3F300B0 1EC2359A
	v_mfma_f32_16x16x32_fp8_fp8 v[176:179], a[156:157], a[28:29], v[176:179]// 00000000BE08: D3F300B0 1EC2399C
	v_mfma_f32_16x16x32_fp8_fp8 v[176:179], a[158:159], a[30:31], v[176:179]// 00000000BE10: D3F300B0 1EC23D9E
	v_mfma_f32_16x16x32_fp8_fp8 v[196:199], a[160:161], a[24:25], v[196:199]// 00000000BE18: D3F300C4 1F1231A0
	v_mfma_f32_16x16x32_fp8_fp8 v[196:199], a[162:163], a[26:27], v[196:199]// 00000000BE20: D3F300C4 1F1235A2
	v_mfma_f32_16x16x32_fp8_fp8 v[196:199], a[164:165], a[28:29], v[196:199]// 00000000BE28: D3F300C4 1F1239A4
	v_mfma_f32_16x16x32_fp8_fp8 v[196:199], a[166:167], a[30:31], v[196:199]// 00000000BE30: D3F300C4 1F123DA6
	v_mfma_f32_16x16x32_fp8_fp8 v[216:219], a[168:169], a[24:25], v[216:219]// 00000000BE38: D3F300D8 1F6231A8
	v_mfma_f32_16x16x32_fp8_fp8 v[216:219], a[170:171], a[26:27], v[216:219]// 00000000BE40: D3F300D8 1F6235AA
	v_mfma_f32_16x16x32_fp8_fp8 v[216:219], a[172:173], a[28:29], v[216:219]// 00000000BE48: D3F300D8 1F6239AC
	v_mfma_f32_16x16x32_fp8_fp8 v[216:219], a[174:175], a[30:31], v[216:219]// 00000000BE50: D3F300D8 1F623DAE
	v_mfma_f32_16x16x32_fp8_fp8 v[160:163], a[144:145], a[32:33], v[160:163]// 00000000BE58: D3F300A0 1E824190
	v_mfma_f32_16x16x32_fp8_fp8 v[160:163], a[146:147], a[34:35], v[160:163]// 00000000BE60: D3F300A0 1E824592
	v_mfma_f32_16x16x32_fp8_fp8 v[160:163], a[148:149], a[36:37], v[160:163]// 00000000BE68: D3F300A0 1E824994
	v_mfma_f32_16x16x32_fp8_fp8 v[160:163], a[150:151], a[38:39], v[160:163]// 00000000BE70: D3F300A0 1E824D96
	v_mfma_f32_16x16x32_fp8_fp8 v[180:183], a[152:153], a[32:33], v[180:183]// 00000000BE78: D3F300B4 1ED24198
	v_mfma_f32_16x16x32_fp8_fp8 v[180:183], a[154:155], a[34:35], v[180:183]// 00000000BE80: D3F300B4 1ED2459A
	v_mfma_f32_16x16x32_fp8_fp8 v[180:183], a[156:157], a[36:37], v[180:183]// 00000000BE88: D3F300B4 1ED2499C
	v_mfma_f32_16x16x32_fp8_fp8 v[180:183], a[158:159], a[38:39], v[180:183]// 00000000BE90: D3F300B4 1ED24D9E
	v_mfma_f32_16x16x32_fp8_fp8 v[200:203], a[160:161], a[32:33], v[200:203]// 00000000BE98: D3F300C8 1F2241A0
	s_add_u32 s60, 0x180, s80                                  // 00000000BEA0: 803C50FF 00000180
	s_cmp_lt_u32 s60, s81                                      // 00000000BEA8: BF0A513C
	s_cselect_b32 s57, s57, 0                                  // 00000000BEAC: 85398039
	v_mfma_f32_16x16x32_fp8_fp8 v[200:203], a[162:163], a[34:35], v[200:203]// 00000000BEB0: D3F300C8 1F2245A2
	s_add_u32 s60, 0x100, s80                                  // 00000000BEB8: 803C50FF 00000100
	s_cmp_lt_u32 s60, s81                                      // 00000000BEC0: BF0A513C
	s_cselect_b32 s58, s58, 0                                  // 00000000BEC4: 853A803A
	v_mfma_f32_16x16x32_fp8_fp8 v[200:203], a[164:165], a[36:37], v[200:203]// 00000000BEC8: D3F300C8 1F2249A4
	s_add_u32 s60, 0x100, s80                                  // 00000000BED0: 803C50FF 00000100
	s_cmp_lt_u32 s60, s81                                      // 00000000BED8: BF0A513C
	s_cselect_b32 s83, s83, 0                                  // 00000000BEDC: 85538053
	v_mfma_f32_16x16x32_fp8_fp8 v[200:203], a[166:167], a[38:39], v[200:203]// 00000000BEE0: D3F300C8 1F224DA6
	s_add_u32 s24, s58, s24                                    // 00000000BEE8: 8018183A
	s_addc_u32 s25, 0, s25                                     // 00000000BEEC: 82191980
	v_mfma_f32_16x16x32_fp8_fp8 v[220:223], a[168:169], a[32:33], v[220:223]// 00000000BEF0: D3F300DC 1F7241A8
	s_add_u32 s20, s57, s20                                    // 00000000BEF8: 80141439
	s_addc_u32 s21, 0, s21                                     // 00000000BEFC: 82151580
	v_mfma_f32_16x16x32_fp8_fp8 v[220:223], a[170:171], a[34:35], v[220:223]// 00000000BF00: D3F300DC 1F7245AA
	s_add_u32 s84, s83, s84                                    // 00000000BF08: 80545453
	s_addc_u32 s85, 0, s85                                     // 00000000BF0C: 82555580
	v_mfma_f32_16x16x32_fp8_fp8 v[220:223], a[172:173], a[36:37], v[220:223]// 00000000BF10: D3F300DC 1F7249AC
	v_mfma_f32_16x16x32_fp8_fp8 v[220:223], a[174:175], a[38:39], v[220:223]// 00000000BF18: D3F300DC 1F724DAE
	s_addk_i32 s80, 0x80                                       // 00000000BF20: B7500080
	s_cmp_lt_i32 s80, s81                                      // 00000000BF24: BF045150
	s_cbranch_scc0 label_2A68                                  // 00000000BF28: BF84051A
	s_waitcnt vmcnt(18) lgkmcnt(0)                             // 00000000BF2C: BF8C4072
	v_mfma_f32_16x16x32_fp8_fp8 v[64:67], a[80:81], a[40:41], v[64:67]// 00000000BF30: D3F30040 1D025150
	buffer_load_dwordx4 a[144:147], v60, s[24:27], 0 offen     // 00000000BF38: E05C1000 8086903C
	v_mfma_f32_16x16x32_fp8_fp8 v[64:67], a[82:83], a[42:43], v[64:67]// 00000000BF40: D3F30040 1D025552
	v_mfma_f32_16x16x32_fp8_fp8 v[64:67], a[84:85], a[44:45], v[64:67]// 00000000BF48: D3F30040 1D025954
	v_mfma_f32_16x16x32_fp8_fp8 v[64:67], a[86:87], a[46:47], v[64:67]// 00000000BF50: D3F30040 1D025D56
	v_mfma_f32_16x16x32_fp8_fp8 v[84:87], a[88:89], a[40:41], v[84:87]// 00000000BF58: D3F30054 1D525158
	buffer_load_dwordx4 a[148:151], v60, s[24:27], 0 offen offset:1024// 00000000BF60: E05C1400 8086943C
	v_mfma_f32_16x16x32_fp8_fp8 v[84:87], a[90:91], a[42:43], v[84:87]// 00000000BF68: D3F30054 1D52555A
	v_mfma_f32_16x16x32_fp8_fp8 v[84:87], a[92:93], a[44:45], v[84:87]// 00000000BF70: D3F30054 1D52595C
	v_mfma_f32_16x16x32_fp8_fp8 v[84:87], a[94:95], a[46:47], v[84:87]// 00000000BF78: D3F30054 1D525D5E
	v_mfma_f32_16x16x32_fp8_fp8 v[104:107], a[96:97], a[40:41], v[104:107]// 00000000BF80: D3F30068 1DA25160
	buffer_load_dwordx4 a[152:155], v61, s[24:27], 0 offen     // 00000000BF88: E05C1000 8086983D
	v_mfma_f32_16x16x32_fp8_fp8 v[104:107], a[98:99], a[42:43], v[104:107]// 00000000BF90: D3F30068 1DA25562
	v_mfma_f32_16x16x32_fp8_fp8 v[104:107], a[100:101], a[44:45], v[104:107]// 00000000BF98: D3F30068 1DA25964
	v_mfma_f32_16x16x32_fp8_fp8 v[104:107], a[102:103], a[46:47], v[104:107]// 00000000BFA0: D3F30068 1DA25D66
	v_mfma_f32_16x16x32_fp8_fp8 v[124:127], a[104:105], a[40:41], v[124:127]// 00000000BFA8: D3F3007C 1DF25168
	buffer_load_dwordx4 a[156:159], v61, s[24:27], 0 offen offset:1024// 00000000BFB0: E05C1400 80869C3D
	v_mfma_f32_16x16x32_fp8_fp8 v[124:127], a[106:107], a[42:43], v[124:127]// 00000000BFB8: D3F3007C 1DF2556A
	v_mfma_f32_16x16x32_fp8_fp8 v[124:127], a[108:109], a[44:45], v[124:127]// 00000000BFC0: D3F3007C 1DF2596C
	v_mfma_f32_16x16x32_fp8_fp8 v[124:127], a[110:111], a[46:47], v[124:127]// 00000000BFC8: D3F3007C 1DF25D6E
	v_mfma_f32_16x16x32_fp8_fp8 v[68:71], a[80:81], a[48:49], v[68:71]// 00000000BFD0: D3F30044 1D126150
	buffer_load_dwordx4 a[160:163], v62, s[24:27], 0 offen     // 00000000BFD8: E05C1000 8086A03E
	v_mfma_f32_16x16x32_fp8_fp8 v[68:71], a[82:83], a[50:51], v[68:71]// 00000000BFE0: D3F30044 1D126552
	v_mfma_f32_16x16x32_fp8_fp8 v[68:71], a[84:85], a[52:53], v[68:71]// 00000000BFE8: D3F30044 1D126954
	v_mfma_f32_16x16x32_fp8_fp8 v[68:71], a[86:87], a[54:55], v[68:71]// 00000000BFF0: D3F30044 1D126D56
	v_mfma_f32_16x16x32_fp8_fp8 v[88:91], a[88:89], a[48:49], v[88:91]// 00000000BFF8: D3F30058 1D626158
	buffer_load_dwordx4 a[164:167], v62, s[24:27], 0 offen offset:1024// 00000000C000: E05C1400 8086A43E
	v_mfma_f32_16x16x32_fp8_fp8 v[88:91], a[90:91], a[50:51], v[88:91]// 00000000C008: D3F30058 1D62655A
	v_mfma_f32_16x16x32_fp8_fp8 v[88:91], a[92:93], a[52:53], v[88:91]// 00000000C010: D3F30058 1D62695C
	v_mfma_f32_16x16x32_fp8_fp8 v[88:91], a[94:95], a[54:55], v[88:91]// 00000000C018: D3F30058 1D626D5E
	v_mfma_f32_16x16x32_fp8_fp8 v[108:111], a[96:97], a[48:49], v[108:111]// 00000000C020: D3F3006C 1DB26160
	buffer_load_dwordx4 a[168:171], v63, s[24:27], 0 offen     // 00000000C028: E05C1000 8086A83F
	v_mfma_f32_16x16x32_fp8_fp8 v[108:111], a[98:99], a[50:51], v[108:111]// 00000000C030: D3F3006C 1DB26562
	v_mfma_f32_16x16x32_fp8_fp8 v[108:111], a[100:101], a[52:53], v[108:111]// 00000000C038: D3F3006C 1DB26964
	v_mfma_f32_16x16x32_fp8_fp8 v[108:111], a[102:103], a[54:55], v[108:111]// 00000000C040: D3F3006C 1DB26D66
	v_mfma_f32_16x16x32_fp8_fp8 v[128:131], a[104:105], a[48:49], v[128:131]// 00000000C048: D3F30080 1E026168
	buffer_load_dwordx4 a[172:175], v63, s[24:27], 0 offen offset:1024// 00000000C050: E05C1400 8086AC3F
	buffer_load_dword v50, s[20:23], 0 offen lds               // 00000000C058: E0511000 80050032
	s_add_u32 m0, 0x100, s50                                   // 00000000C060: 807C32FF 00000100
	v_mfma_f32_16x16x32_fp8_fp8 v[128:131], a[106:107], a[50:51], v[128:131]// 00000000C068: D3F30080 1E02656A
	v_mfma_f32_16x16x32_fp8_fp8 v[128:131], a[108:109], a[52:53], v[128:131]// 00000000C070: D3F30080 1E02696C
	buffer_load_dword v51, s[20:23], 0 offen lds               // 00000000C078: E0511000 80050033
	s_add_u32 m0, 0x200, s50                                   // 00000000C080: 807C32FF 00000200
	v_mfma_f32_16x16x32_fp8_fp8 v[128:131], a[110:111], a[54:55], v[128:131]// 00000000C088: D3F30080 1E026D6E
	v_mfma_f32_16x16x32_fp8_fp8 v[72:75], a[80:81], a[56:57], v[72:75]// 00000000C090: D3F30048 1D227150
	buffer_load_dword v52, s[20:23], 0 offen lds               // 00000000C098: E0511000 80050034
	s_add_u32 m0, 0x300, s50                                   // 00000000C0A0: 807C32FF 00000300
	v_mfma_f32_16x16x32_fp8_fp8 v[72:75], a[82:83], a[58:59], v[72:75]// 00000000C0A8: D3F30048 1D227552
	v_mfma_f32_16x16x32_fp8_fp8 v[72:75], a[84:85], a[60:61], v[72:75]// 00000000C0B0: D3F30048 1D227954
	buffer_load_dword v53, s[20:23], 0 offen lds               // 00000000C0B8: E0511000 80050035
	s_add_u32 m0, 0x400, s50                                   // 00000000C0C0: 807C32FF 00000400
	v_mfma_f32_16x16x32_fp8_fp8 v[72:75], a[86:87], a[62:63], v[72:75]// 00000000C0C8: D3F30048 1D227D56
	v_mfma_f32_16x16x32_fp8_fp8 v[92:95], a[88:89], a[56:57], v[92:95]// 00000000C0D0: D3F3005C 1D727158
	buffer_load_dword v54, s[20:23], 0 offen lds               // 00000000C0D8: E0511000 80050036
	s_add_u32 m0, 0x500, s50                                   // 00000000C0E0: 807C32FF 00000500
	v_mfma_f32_16x16x32_fp8_fp8 v[92:95], a[90:91], a[58:59], v[92:95]// 00000000C0E8: D3F3005C 1D72755A
	v_mfma_f32_16x16x32_fp8_fp8 v[92:95], a[92:93], a[60:61], v[92:95]// 00000000C0F0: D3F3005C 1D72795C
	buffer_load_dword v55, s[20:23], 0 offen lds               // 00000000C0F8: E0511000 80050037
	s_add_u32 m0, 0x600, s50                                   // 00000000C100: 807C32FF 00000600
	v_mfma_f32_16x16x32_fp8_fp8 v[92:95], a[94:95], a[62:63], v[92:95]// 00000000C108: D3F3005C 1D727D5E
	v_mfma_f32_16x16x32_fp8_fp8 v[112:115], a[96:97], a[56:57], v[112:115]// 00000000C110: D3F30070 1DC27160
	buffer_load_dword v56, s[20:23], 0 offen lds               // 00000000C118: E0511000 80050038
	s_add_u32 m0, 0x700, s50                                   // 00000000C120: 807C32FF 00000700
	v_mfma_f32_16x16x32_fp8_fp8 v[112:115], a[98:99], a[58:59], v[112:115]// 00000000C128: D3F30070 1DC27562
	v_mfma_f32_16x16x32_fp8_fp8 v[112:115], a[100:101], a[60:61], v[112:115]// 00000000C130: D3F30070 1DC27964
	buffer_load_dword v57, s[20:23], 0 offen lds               // 00000000C138: E0511000 80050039
	s_add_u32 m0, 0x800, s50                                   // 00000000C140: 807C32FF 00000800
	v_mfma_f32_16x16x32_fp8_fp8 v[112:115], a[102:103], a[62:63], v[112:115]// 00000000C148: D3F30070 1DC27D66
	v_mfma_f32_16x16x32_fp8_fp8 v[132:135], a[104:105], a[56:57], v[132:135]// 00000000C150: D3F30084 1E127168
	buffer_load_dword v58, s[20:23], 0 offen lds               // 00000000C158: E0511000 8005003A
	s_add_u32 m0, 0x900, s50                                   // 00000000C160: 807C32FF 00000900
	v_mfma_f32_16x16x32_fp8_fp8 v[132:135], a[106:107], a[58:59], v[132:135]// 00000000C168: D3F30084 1E12756A
	v_mfma_f32_16x16x32_fp8_fp8 v[132:135], a[108:109], a[60:61], v[132:135]// 00000000C170: D3F30084 1E12796C
	buffer_load_dword v59, s[20:23], 0 offen lds               // 00000000C178: E0511000 8005003B
	s_add_u32 m0, 0, s48                                       // 00000000C180: 807C3080
	v_mfma_f32_16x16x32_fp8_fp8 v[132:135], a[110:111], a[62:63], v[132:135]// 00000000C184: D3F30084 1E127D6E
	v_mfma_f32_16x16x32_fp8_fp8 v[76:79], a[80:81], a[64:65], v[76:79]// 00000000C18C: D3F3004C 1D328150
	v_mfma_f32_16x16x32_fp8_fp8 v[76:79], a[82:83], a[66:67], v[76:79]// 00000000C194: D3F3004C 1D328552
	v_mfma_f32_16x16x32_fp8_fp8 v[76:79], a[84:85], a[68:69], v[76:79]// 00000000C19C: D3F3004C 1D328954
	v_mfma_f32_16x16x32_fp8_fp8 v[76:79], a[86:87], a[70:71], v[76:79]// 00000000C1A4: D3F3004C 1D328D56
	v_mfma_f32_16x16x32_fp8_fp8 v[96:99], a[88:89], a[64:65], v[96:99]// 00000000C1AC: D3F30060 1D828158
	v_mfma_f32_16x16x32_fp8_fp8 v[96:99], a[90:91], a[66:67], v[96:99]// 00000000C1B4: D3F30060 1D82855A
	v_mfma_f32_16x16x32_fp8_fp8 v[96:99], a[92:93], a[68:69], v[96:99]// 00000000C1BC: D3F30060 1D82895C
	v_mfma_f32_16x16x32_fp8_fp8 v[96:99], a[94:95], a[70:71], v[96:99]// 00000000C1C4: D3F30060 1D828D5E
	v_mfma_f32_16x16x32_fp8_fp8 v[116:119], a[96:97], a[64:65], v[116:119]// 00000000C1CC: D3F30074 1DD28160
	v_mfma_f32_16x16x32_fp8_fp8 v[116:119], a[98:99], a[66:67], v[116:119]// 00000000C1D4: D3F30074 1DD28562
	v_mfma_f32_16x16x32_fp8_fp8 v[116:119], a[100:101], a[68:69], v[116:119]// 00000000C1DC: D3F30074 1DD28964
	v_mfma_f32_16x16x32_fp8_fp8 v[116:119], a[102:103], a[70:71], v[116:119]// 00000000C1E4: D3F30074 1DD28D66
	v_mfma_f32_16x16x32_fp8_fp8 v[136:139], a[104:105], a[64:65], v[136:139]// 00000000C1EC: D3F30088 1E228168
	v_mfma_f32_16x16x32_fp8_fp8 v[136:139], a[106:107], a[66:67], v[136:139]// 00000000C1F4: D3F30088 1E22856A
	v_mfma_f32_16x16x32_fp8_fp8 v[136:139], a[108:109], a[68:69], v[136:139]// 00000000C1FC: D3F30088 1E22896C
	v_mfma_f32_16x16x32_fp8_fp8 v[136:139], a[110:111], a[70:71], v[136:139]// 00000000C204: D3F30088 1E228D6E
	v_mfma_f32_16x16x32_fp8_fp8 v[80:83], a[80:81], a[72:73], v[80:83]// 00000000C20C: D3F30050 1D429150
	v_mfma_f32_16x16x32_fp8_fp8 v[80:83], a[82:83], a[74:75], v[80:83]// 00000000C214: D3F30050 1D429552
	v_mfma_f32_16x16x32_fp8_fp8 v[80:83], a[84:85], a[76:77], v[80:83]// 00000000C21C: D3F30050 1D429954
	v_mfma_f32_16x16x32_fp8_fp8 v[80:83], a[86:87], a[78:79], v[80:83]// 00000000C224: D3F30050 1D429D56
	v_mfma_f32_16x16x32_fp8_fp8 v[100:103], a[88:89], a[72:73], v[100:103]// 00000000C22C: D3F30064 1D929158
	v_mfma_f32_16x16x32_fp8_fp8 v[100:103], a[90:91], a[74:75], v[100:103]// 00000000C234: D3F30064 1D92955A
	v_mfma_f32_16x16x32_fp8_fp8 v[100:103], a[92:93], a[76:77], v[100:103]// 00000000C23C: D3F30064 1D92995C
	v_mfma_f32_16x16x32_fp8_fp8 v[100:103], a[94:95], a[78:79], v[100:103]// 00000000C244: D3F30064 1D929D5E
	v_mfma_f32_16x16x32_fp8_fp8 v[120:123], a[96:97], a[72:73], v[120:123]// 00000000C24C: D3F30078 1DE29160
	v_mfma_f32_16x16x32_fp8_fp8 v[120:123], a[98:99], a[74:75], v[120:123]// 00000000C254: D3F30078 1DE29562
	v_mfma_f32_16x16x32_fp8_fp8 v[120:123], a[100:101], a[76:77], v[120:123]// 00000000C25C: D3F30078 1DE29964
	v_mfma_f32_16x16x32_fp8_fp8 v[120:123], a[102:103], a[78:79], v[120:123]// 00000000C264: D3F30078 1DE29D66
	v_mfma_f32_16x16x32_fp8_fp8 v[140:143], a[104:105], a[72:73], v[140:143]// 00000000C26C: D3F3008C 1E329168
	v_mfma_f32_16x16x32_fp8_fp8 v[140:143], a[106:107], a[74:75], v[140:143]// 00000000C274: D3F3008C 1E32956A
	v_mfma_f32_16x16x32_fp8_fp8 v[140:143], a[108:109], a[76:77], v[140:143]// 00000000C27C: D3F3008C 1E32996C
	v_mfma_f32_16x16x32_fp8_fp8 v[140:143], a[110:111], a[78:79], v[140:143]// 00000000C284: D3F3008C 1E329D6E
	s_waitcnt vmcnt(18)                                        // 00000000C28C: BF8C4F72
	s_barrier                                                  // 00000000C290: BF8A0000
	v_mfma_f32_16x16x32_fp8_fp8 v[144:147], a[112:113], a[40:41], v[144:147]// 00000000C294: D3F30090 1E425170
	buffer_load_dwordx4 a[80:83], v60, s[84:87], 0 offen       // 00000000C29C: E05C1000 8095503C
	v_mfma_f32_16x16x32_fp8_fp8 v[144:147], a[114:115], a[42:43], v[144:147]// 00000000C2A4: D3F30090 1E425572
	v_mfma_f32_16x16x32_fp8_fp8 v[144:147], a[116:117], a[44:45], v[144:147]// 00000000C2AC: D3F30090 1E425974
	ds_read_b128 a[0:3], v2 offset:10368                       // 00000000C2B4: DBFE2880 00000002
	ds_read_b128 a[4:7], v2 offset:10432                       // 00000000C2BC: DBFE28C0 04000002
	v_mfma_f32_16x16x32_fp8_fp8 v[144:147], a[118:119], a[46:47], v[144:147]// 00000000C2C4: D3F30090 1E425D76
	v_mfma_f32_16x16x32_fp8_fp8 v[164:167], a[120:121], a[40:41], v[164:167]// 00000000C2CC: D3F300A4 1E925178
	buffer_load_dwordx4 a[84:87], v60, s[84:87], 0 offen offset:1024// 00000000C2D4: E05C1400 8095543C
	v_mfma_f32_16x16x32_fp8_fp8 v[164:167], a[122:123], a[42:43], v[164:167]// 00000000C2DC: D3F300A4 1E92557A
	v_mfma_f32_16x16x32_fp8_fp8 v[164:167], a[124:125], a[44:45], v[164:167]// 00000000C2E4: D3F300A4 1E92597C
	ds_read_b128 a[8:11], v2 offset:10880                      // 00000000C2EC: DBFE2A80 08000002
	ds_read_b128 a[12:15], v2 offset:10944                     // 00000000C2F4: DBFE2AC0 0C000002
	v_mfma_f32_16x16x32_fp8_fp8 v[164:167], a[126:127], a[46:47], v[164:167]// 00000000C2FC: D3F300A4 1E925D7E
	v_mfma_f32_16x16x32_fp8_fp8 v[184:187], a[128:129], a[40:41], v[184:187]// 00000000C304: D3F300B8 1EE25180
	buffer_load_dwordx4 a[88:91], v61, s[84:87], 0 offen       // 00000000C30C: E05C1000 8095583D
	v_mfma_f32_16x16x32_fp8_fp8 v[184:187], a[130:131], a[42:43], v[184:187]// 00000000C314: D3F300B8 1EE25582
	v_mfma_f32_16x16x32_fp8_fp8 v[184:187], a[132:133], a[44:45], v[184:187]// 00000000C31C: D3F300B8 1EE25984
	ds_read_b128 a[16:19], v2 offset:11392                     // 00000000C324: DBFE2C80 10000002
	ds_read_b128 a[20:23], v2 offset:11456                     // 00000000C32C: DBFE2CC0 14000002
	v_mfma_f32_16x16x32_fp8_fp8 v[184:187], a[134:135], a[46:47], v[184:187]// 00000000C334: D3F300B8 1EE25D86
	v_mfma_f32_16x16x32_fp8_fp8 v[204:207], a[136:137], a[40:41], v[204:207]// 00000000C33C: D3F300CC 1F325188
	buffer_load_dwordx4 a[92:95], v61, s[84:87], 0 offen offset:1024// 00000000C344: E05C1400 80955C3D
	v_mfma_f32_16x16x32_fp8_fp8 v[204:207], a[138:139], a[42:43], v[204:207]// 00000000C34C: D3F300CC 1F32558A
	v_mfma_f32_16x16x32_fp8_fp8 v[204:207], a[140:141], a[44:45], v[204:207]// 00000000C354: D3F300CC 1F32598C
	ds_read_b128 a[24:27], v2 offset:11904                     // 00000000C35C: DBFE2E80 18000002
	ds_read_b128 a[28:31], v2 offset:11968                     // 00000000C364: DBFE2EC0 1C000002
	v_mfma_f32_16x16x32_fp8_fp8 v[204:207], a[142:143], a[46:47], v[204:207]// 00000000C36C: D3F300CC 1F325D8E
	v_mfma_f32_16x16x32_fp8_fp8 v[148:151], a[112:113], a[48:49], v[148:151]// 00000000C374: D3F30094 1E526170
	buffer_load_dwordx4 a[96:99], v62, s[84:87], 0 offen       // 00000000C37C: E05C1000 8095603E
	v_mfma_f32_16x16x32_fp8_fp8 v[148:151], a[114:115], a[50:51], v[148:151]// 00000000C384: D3F30094 1E526572
	v_mfma_f32_16x16x32_fp8_fp8 v[148:151], a[116:117], a[52:53], v[148:151]// 00000000C38C: D3F30094 1E526974
	ds_read_b128 a[32:35], v2 offset:12416                     // 00000000C394: DBFE3080 20000002
	ds_read_b128 a[36:39], v2 offset:12480                     // 00000000C39C: DBFE30C0 24000002
	v_mfma_f32_16x16x32_fp8_fp8 v[148:151], a[118:119], a[54:55], v[148:151]// 00000000C3A4: D3F30094 1E526D76
	v_mfma_f32_16x16x32_fp8_fp8 v[168:171], a[120:121], a[48:49], v[168:171]// 00000000C3AC: D3F300A8 1EA26178
	buffer_load_dwordx4 a[100:103], v62, s[84:87], 0 offen offset:1024// 00000000C3B4: E05C1400 8095643E
	v_mfma_f32_16x16x32_fp8_fp8 v[168:171], a[122:123], a[50:51], v[168:171]// 00000000C3BC: D3F300A8 1EA2657A
	v_mfma_f32_16x16x32_fp8_fp8 v[168:171], a[124:125], a[52:53], v[168:171]// 00000000C3C4: D3F300A8 1EA2697C
	v_mfma_f32_16x16x32_fp8_fp8 v[168:171], a[126:127], a[54:55], v[168:171]// 00000000C3CC: D3F300A8 1EA26D7E
	v_mfma_f32_16x16x32_fp8_fp8 v[188:191], a[128:129], a[48:49], v[188:191]// 00000000C3D4: D3F300BC 1EF26180
	buffer_load_dwordx4 a[104:107], v63, s[84:87], 0 offen     // 00000000C3DC: E05C1000 8095683F
	v_mfma_f32_16x16x32_fp8_fp8 v[188:191], a[130:131], a[50:51], v[188:191]// 00000000C3E4: D3F300BC 1EF26582
	v_mfma_f32_16x16x32_fp8_fp8 v[188:191], a[132:133], a[52:53], v[188:191]// 00000000C3EC: D3F300BC 1EF26984
	v_mfma_f32_16x16x32_fp8_fp8 v[188:191], a[134:135], a[54:55], v[188:191]// 00000000C3F4: D3F300BC 1EF26D86
	v_mfma_f32_16x16x32_fp8_fp8 v[208:211], a[136:137], a[48:49], v[208:211]// 00000000C3FC: D3F300D0 1F426188
	buffer_load_dwordx4 a[108:111], v63, s[84:87], 0 offen offset:1024// 00000000C404: E05C1400 80956C3F
	v_mfma_f32_16x16x32_fp8_fp8 v[208:211], a[138:139], a[50:51], v[208:211]// 00000000C40C: D3F300D0 1F42658A
	v_mfma_f32_16x16x32_fp8_fp8 v[208:211], a[140:141], a[52:53], v[208:211]// 00000000C414: D3F300D0 1F42698C
	v_mfma_f32_16x16x32_fp8_fp8 v[208:211], a[142:143], a[54:55], v[208:211]// 00000000C41C: D3F300D0 1F426D8E
	v_mfma_f32_16x16x32_fp8_fp8 v[152:155], a[112:113], a[56:57], v[152:155]// 00000000C424: D3F30098 1E627170
	v_mfma_f32_16x16x32_fp8_fp8 v[152:155], a[114:115], a[58:59], v[152:155]// 00000000C42C: D3F30098 1E627572
	v_mfma_f32_16x16x32_fp8_fp8 v[152:155], a[116:117], a[60:61], v[152:155]// 00000000C434: D3F30098 1E627974
	v_mfma_f32_16x16x32_fp8_fp8 v[152:155], a[118:119], a[62:63], v[152:155]// 00000000C43C: D3F30098 1E627D76
	v_mfma_f32_16x16x32_fp8_fp8 v[172:175], a[120:121], a[56:57], v[172:175]// 00000000C444: D3F300AC 1EB27178
	v_mfma_f32_16x16x32_fp8_fp8 v[172:175], a[122:123], a[58:59], v[172:175]// 00000000C44C: D3F300AC 1EB2757A
	v_mfma_f32_16x16x32_fp8_fp8 v[172:175], a[124:125], a[60:61], v[172:175]// 00000000C454: D3F300AC 1EB2797C
	v_mfma_f32_16x16x32_fp8_fp8 v[172:175], a[126:127], a[62:63], v[172:175]// 00000000C45C: D3F300AC 1EB27D7E
	v_mfma_f32_16x16x32_fp8_fp8 v[192:195], a[128:129], a[56:57], v[192:195]// 00000000C464: D3F300C0 1F027180
	v_mfma_f32_16x16x32_fp8_fp8 v[192:195], a[130:131], a[58:59], v[192:195]// 00000000C46C: D3F300C0 1F027582
	v_mfma_f32_16x16x32_fp8_fp8 v[192:195], a[132:133], a[60:61], v[192:195]// 00000000C474: D3F300C0 1F027984
	v_mfma_f32_16x16x32_fp8_fp8 v[192:195], a[134:135], a[62:63], v[192:195]// 00000000C47C: D3F300C0 1F027D86
	v_mfma_f32_16x16x32_fp8_fp8 v[212:215], a[136:137], a[56:57], v[212:215]// 00000000C484: D3F300D4 1F527188
	v_mfma_f32_16x16x32_fp8_fp8 v[212:215], a[138:139], a[58:59], v[212:215]// 00000000C48C: D3F300D4 1F52758A
	v_mfma_f32_16x16x32_fp8_fp8 v[212:215], a[140:141], a[60:61], v[212:215]// 00000000C494: D3F300D4 1F52798C
	v_mfma_f32_16x16x32_fp8_fp8 v[212:215], a[142:143], a[62:63], v[212:215]// 00000000C49C: D3F300D4 1F527D8E
	v_mfma_f32_16x16x32_fp8_fp8 v[156:159], a[112:113], a[64:65], v[156:159]// 00000000C4A4: D3F3009C 1E728170
	v_mfma_f32_16x16x32_fp8_fp8 v[156:159], a[114:115], a[66:67], v[156:159]// 00000000C4AC: D3F3009C 1E728572
	v_mfma_f32_16x16x32_fp8_fp8 v[156:159], a[116:117], a[68:69], v[156:159]// 00000000C4B4: D3F3009C 1E728974
	v_mfma_f32_16x16x32_fp8_fp8 v[156:159], a[118:119], a[70:71], v[156:159]// 00000000C4BC: D3F3009C 1E728D76
	v_mfma_f32_16x16x32_fp8_fp8 v[176:179], a[120:121], a[64:65], v[176:179]// 00000000C4C4: D3F300B0 1EC28178
	v_mfma_f32_16x16x32_fp8_fp8 v[176:179], a[122:123], a[66:67], v[176:179]// 00000000C4CC: D3F300B0 1EC2857A
	v_mfma_f32_16x16x32_fp8_fp8 v[176:179], a[124:125], a[68:69], v[176:179]// 00000000C4D4: D3F300B0 1EC2897C
	v_mfma_f32_16x16x32_fp8_fp8 v[176:179], a[126:127], a[70:71], v[176:179]// 00000000C4DC: D3F300B0 1EC28D7E
	v_mfma_f32_16x16x32_fp8_fp8 v[196:199], a[128:129], a[64:65], v[196:199]// 00000000C4E4: D3F300C4 1F128180
	v_mfma_f32_16x16x32_fp8_fp8 v[196:199], a[130:131], a[66:67], v[196:199]// 00000000C4EC: D3F300C4 1F128582
	v_mfma_f32_16x16x32_fp8_fp8 v[196:199], a[132:133], a[68:69], v[196:199]// 00000000C4F4: D3F300C4 1F128984
	v_mfma_f32_16x16x32_fp8_fp8 v[196:199], a[134:135], a[70:71], v[196:199]// 00000000C4FC: D3F300C4 1F128D86
	v_mfma_f32_16x16x32_fp8_fp8 v[216:219], a[136:137], a[64:65], v[216:219]// 00000000C504: D3F300D8 1F628188
	v_mfma_f32_16x16x32_fp8_fp8 v[216:219], a[138:139], a[66:67], v[216:219]// 00000000C50C: D3F300D8 1F62858A
	v_mfma_f32_16x16x32_fp8_fp8 v[216:219], a[140:141], a[68:69], v[216:219]// 00000000C514: D3F300D8 1F62898C
	v_mfma_f32_16x16x32_fp8_fp8 v[216:219], a[142:143], a[70:71], v[216:219]// 00000000C51C: D3F300D8 1F628D8E
	v_mfma_f32_16x16x32_fp8_fp8 v[160:163], a[112:113], a[72:73], v[160:163]// 00000000C524: D3F300A0 1E829170
	v_mfma_f32_16x16x32_fp8_fp8 v[160:163], a[114:115], a[74:75], v[160:163]// 00000000C52C: D3F300A0 1E829572
	v_mfma_f32_16x16x32_fp8_fp8 v[160:163], a[116:117], a[76:77], v[160:163]// 00000000C534: D3F300A0 1E829974
	v_mfma_f32_16x16x32_fp8_fp8 v[160:163], a[118:119], a[78:79], v[160:163]// 00000000C53C: D3F300A0 1E829D76
	v_mfma_f32_16x16x32_fp8_fp8 v[180:183], a[120:121], a[72:73], v[180:183]// 00000000C544: D3F300B4 1ED29178
	v_mfma_f32_16x16x32_fp8_fp8 v[180:183], a[122:123], a[74:75], v[180:183]// 00000000C54C: D3F300B4 1ED2957A
	v_mfma_f32_16x16x32_fp8_fp8 v[180:183], a[124:125], a[76:77], v[180:183]// 00000000C554: D3F300B4 1ED2997C
	v_mfma_f32_16x16x32_fp8_fp8 v[180:183], a[126:127], a[78:79], v[180:183]// 00000000C55C: D3F300B4 1ED29D7E
	v_mfma_f32_16x16x32_fp8_fp8 v[200:203], a[128:129], a[72:73], v[200:203]// 00000000C564: D3F300C8 1F229180
	s_add_u32 s60, 0x180, s80                                  // 00000000C56C: 803C50FF 00000180
	s_cmp_lt_u32 s60, s81                                      // 00000000C574: BF0A513C
	s_cselect_b32 s57, s57, 0                                  // 00000000C578: 85398039
	v_mfma_f32_16x16x32_fp8_fp8 v[200:203], a[130:131], a[74:75], v[200:203]// 00000000C57C: D3F300C8 1F229582
	s_add_u32 s60, 0x100, s80                                  // 00000000C584: 803C50FF 00000100
	s_cmp_lt_u32 s60, s81                                      // 00000000C58C: BF0A513C
	s_cselect_b32 s58, s58, 0                                  // 00000000C590: 853A803A
	v_mfma_f32_16x16x32_fp8_fp8 v[200:203], a[132:133], a[76:77], v[200:203]// 00000000C594: D3F300C8 1F229984
	s_add_u32 s60, 0x100, s80                                  // 00000000C59C: 803C50FF 00000100
	s_cmp_lt_u32 s60, s81                                      // 00000000C5A4: BF0A513C
	s_cselect_b32 s83, s83, 0                                  // 00000000C5A8: 85538053
	v_mfma_f32_16x16x32_fp8_fp8 v[200:203], a[134:135], a[78:79], v[200:203]// 00000000C5AC: D3F300C8 1F229D86
	s_add_u32 s24, s58, s24                                    // 00000000C5B4: 8018183A
	s_addc_u32 s25, 0, s25                                     // 00000000C5B8: 82191980
	v_mfma_f32_16x16x32_fp8_fp8 v[220:223], a[136:137], a[72:73], v[220:223]// 00000000C5BC: D3F300DC 1F729188
	s_add_u32 s20, s57, s20                                    // 00000000C5C4: 80141439
	s_addc_u32 s21, 0, s21                                     // 00000000C5C8: 82151580
	v_mfma_f32_16x16x32_fp8_fp8 v[220:223], a[138:139], a[74:75], v[220:223]// 00000000C5CC: D3F300DC 1F72958A
	s_add_u32 s84, s83, s84                                    // 00000000C5D4: 80545453
	s_addc_u32 s85, 0, s85                                     // 00000000C5D8: 82555580
	v_mfma_f32_16x16x32_fp8_fp8 v[220:223], a[140:141], a[76:77], v[220:223]// 00000000C5DC: D3F300DC 1F72998C
	v_mfma_f32_16x16x32_fp8_fp8 v[220:223], a[142:143], a[78:79], v[220:223]// 00000000C5E4: D3F300DC 1F729D8E
	s_addk_i32 s80, 0x80                                       // 00000000C5EC: B7500080
	s_cmp_lt_i32 s80, s81                                      // 00000000C5F0: BF045150
	s_cbranch_scc0 label_2A68                                  // 00000000C5F4: BF840367
	s_waitcnt vmcnt(18) lgkmcnt(0)                             // 00000000C5F8: BF8C4072
	v_mfma_f32_16x16x32_fp8_fp8 v[64:67], a[144:145], a[0:1], v[64:67]// 00000000C5FC: D3F30040 1D020190
	buffer_load_dwordx4 a[112:115], v60, s[24:27], 0 offen     // 00000000C604: E05C1000 8086703C
	v_mfma_f32_16x16x32_fp8_fp8 v[64:67], a[146:147], a[2:3], v[64:67]// 00000000C60C: D3F30040 1D020592
	v_mfma_f32_16x16x32_fp8_fp8 v[64:67], a[148:149], a[4:5], v[64:67]// 00000000C614: D3F30040 1D020994
	v_mfma_f32_16x16x32_fp8_fp8 v[64:67], a[150:151], a[6:7], v[64:67]// 00000000C61C: D3F30040 1D020D96
	v_mfma_f32_16x16x32_fp8_fp8 v[84:87], a[152:153], a[0:1], v[84:87]// 00000000C624: D3F30054 1D520198
	buffer_load_dwordx4 a[116:119], v60, s[24:27], 0 offen offset:1024// 00000000C62C: E05C1400 8086743C
	v_mfma_f32_16x16x32_fp8_fp8 v[84:87], a[154:155], a[2:3], v[84:87]// 00000000C634: D3F30054 1D52059A
	v_mfma_f32_16x16x32_fp8_fp8 v[84:87], a[156:157], a[4:5], v[84:87]// 00000000C63C: D3F30054 1D52099C
	v_mfma_f32_16x16x32_fp8_fp8 v[84:87], a[158:159], a[6:7], v[84:87]// 00000000C644: D3F30054 1D520D9E
	v_mfma_f32_16x16x32_fp8_fp8 v[104:107], a[160:161], a[0:1], v[104:107]// 00000000C64C: D3F30068 1DA201A0
	buffer_load_dwordx4 a[120:123], v61, s[24:27], 0 offen     // 00000000C654: E05C1000 8086783D
	v_mfma_f32_16x16x32_fp8_fp8 v[104:107], a[162:163], a[2:3], v[104:107]// 00000000C65C: D3F30068 1DA205A2
	v_mfma_f32_16x16x32_fp8_fp8 v[104:107], a[164:165], a[4:5], v[104:107]// 00000000C664: D3F30068 1DA209A4
	v_mfma_f32_16x16x32_fp8_fp8 v[104:107], a[166:167], a[6:7], v[104:107]// 00000000C66C: D3F30068 1DA20DA6
	v_mfma_f32_16x16x32_fp8_fp8 v[124:127], a[168:169], a[0:1], v[124:127]// 00000000C674: D3F3007C 1DF201A8
	buffer_load_dwordx4 a[124:127], v61, s[24:27], 0 offen offset:1024// 00000000C67C: E05C1400 80867C3D
	v_mfma_f32_16x16x32_fp8_fp8 v[124:127], a[170:171], a[2:3], v[124:127]// 00000000C684: D3F3007C 1DF205AA
	v_mfma_f32_16x16x32_fp8_fp8 v[124:127], a[172:173], a[4:5], v[124:127]// 00000000C68C: D3F3007C 1DF209AC
	v_mfma_f32_16x16x32_fp8_fp8 v[124:127], a[174:175], a[6:7], v[124:127]// 00000000C694: D3F3007C 1DF20DAE
	v_mfma_f32_16x16x32_fp8_fp8 v[68:71], a[144:145], a[8:9], v[68:71]// 00000000C69C: D3F30044 1D121190
	buffer_load_dwordx4 a[128:131], v62, s[24:27], 0 offen     // 00000000C6A4: E05C1000 8086803E
	v_mfma_f32_16x16x32_fp8_fp8 v[68:71], a[146:147], a[10:11], v[68:71]// 00000000C6AC: D3F30044 1D121592
	v_mfma_f32_16x16x32_fp8_fp8 v[68:71], a[148:149], a[12:13], v[68:71]// 00000000C6B4: D3F30044 1D121994
	v_mfma_f32_16x16x32_fp8_fp8 v[68:71], a[150:151], a[14:15], v[68:71]// 00000000C6BC: D3F30044 1D121D96
	v_mfma_f32_16x16x32_fp8_fp8 v[88:91], a[152:153], a[8:9], v[88:91]// 00000000C6C4: D3F30058 1D621198
	buffer_load_dwordx4 a[132:135], v62, s[24:27], 0 offen offset:1024// 00000000C6CC: E05C1400 8086843E
	v_mfma_f32_16x16x32_fp8_fp8 v[88:91], a[154:155], a[10:11], v[88:91]// 00000000C6D4: D3F30058 1D62159A
	v_mfma_f32_16x16x32_fp8_fp8 v[88:91], a[156:157], a[12:13], v[88:91]// 00000000C6DC: D3F30058 1D62199C
	v_mfma_f32_16x16x32_fp8_fp8 v[88:91], a[158:159], a[14:15], v[88:91]// 00000000C6E4: D3F30058 1D621D9E
	v_mfma_f32_16x16x32_fp8_fp8 v[108:111], a[160:161], a[8:9], v[108:111]// 00000000C6EC: D3F3006C 1DB211A0
	buffer_load_dwordx4 a[136:139], v63, s[24:27], 0 offen     // 00000000C6F4: E05C1000 8086883F
	v_mfma_f32_16x16x32_fp8_fp8 v[108:111], a[162:163], a[10:11], v[108:111]// 00000000C6FC: D3F3006C 1DB215A2
	v_mfma_f32_16x16x32_fp8_fp8 v[108:111], a[164:165], a[12:13], v[108:111]// 00000000C704: D3F3006C 1DB219A4
	v_mfma_f32_16x16x32_fp8_fp8 v[108:111], a[166:167], a[14:15], v[108:111]// 00000000C70C: D3F3006C 1DB21DA6
	v_mfma_f32_16x16x32_fp8_fp8 v[128:131], a[168:169], a[8:9], v[128:131]// 00000000C714: D3F30080 1E0211A8
	buffer_load_dwordx4 a[140:143], v63, s[24:27], 0 offen offset:1024// 00000000C71C: E05C1400 80868C3F
	buffer_load_dword v50, s[20:23], 0 offen lds               // 00000000C724: E0511000 80050032
	s_add_u32 m0, 0x100, s48                                   // 00000000C72C: 807C30FF 00000100
	v_mfma_f32_16x16x32_fp8_fp8 v[128:131], a[170:171], a[10:11], v[128:131]// 00000000C734: D3F30080 1E0215AA
	v_mfma_f32_16x16x32_fp8_fp8 v[128:131], a[172:173], a[12:13], v[128:131]// 00000000C73C: D3F30080 1E0219AC
	buffer_load_dword v51, s[20:23], 0 offen lds               // 00000000C744: E0511000 80050033
	s_add_u32 m0, 0x200, s48                                   // 00000000C74C: 807C30FF 00000200
	v_mfma_f32_16x16x32_fp8_fp8 v[128:131], a[174:175], a[14:15], v[128:131]// 00000000C754: D3F30080 1E021DAE
	v_mfma_f32_16x16x32_fp8_fp8 v[72:75], a[144:145], a[16:17], v[72:75]// 00000000C75C: D3F30048 1D222190
	buffer_load_dword v52, s[20:23], 0 offen lds               // 00000000C764: E0511000 80050034
	s_add_u32 m0, 0x300, s48                                   // 00000000C76C: 807C30FF 00000300
	v_mfma_f32_16x16x32_fp8_fp8 v[72:75], a[146:147], a[18:19], v[72:75]// 00000000C774: D3F30048 1D222592
	v_mfma_f32_16x16x32_fp8_fp8 v[72:75], a[148:149], a[20:21], v[72:75]// 00000000C77C: D3F30048 1D222994
	buffer_load_dword v53, s[20:23], 0 offen lds               // 00000000C784: E0511000 80050035
	s_add_u32 m0, 0x400, s48                                   // 00000000C78C: 807C30FF 00000400
	v_mfma_f32_16x16x32_fp8_fp8 v[72:75], a[150:151], a[22:23], v[72:75]// 00000000C794: D3F30048 1D222D96
	v_mfma_f32_16x16x32_fp8_fp8 v[92:95], a[152:153], a[16:17], v[92:95]// 00000000C79C: D3F3005C 1D722198
	buffer_load_dword v54, s[20:23], 0 offen lds               // 00000000C7A4: E0511000 80050036
	s_add_u32 m0, 0x500, s48                                   // 00000000C7AC: 807C30FF 00000500
	v_mfma_f32_16x16x32_fp8_fp8 v[92:95], a[154:155], a[18:19], v[92:95]// 00000000C7B4: D3F3005C 1D72259A
	v_mfma_f32_16x16x32_fp8_fp8 v[92:95], a[156:157], a[20:21], v[92:95]// 00000000C7BC: D3F3005C 1D72299C
	buffer_load_dword v55, s[20:23], 0 offen lds               // 00000000C7C4: E0511000 80050037
	s_add_u32 m0, 0x600, s48                                   // 00000000C7CC: 807C30FF 00000600
	v_mfma_f32_16x16x32_fp8_fp8 v[92:95], a[158:159], a[22:23], v[92:95]// 00000000C7D4: D3F3005C 1D722D9E
	v_mfma_f32_16x16x32_fp8_fp8 v[112:115], a[160:161], a[16:17], v[112:115]// 00000000C7DC: D3F30070 1DC221A0
	buffer_load_dword v56, s[20:23], 0 offen lds               // 00000000C7E4: E0511000 80050038
	s_add_u32 m0, 0x700, s48                                   // 00000000C7EC: 807C30FF 00000700
	v_mfma_f32_16x16x32_fp8_fp8 v[112:115], a[162:163], a[18:19], v[112:115]// 00000000C7F4: D3F30070 1DC225A2
	v_mfma_f32_16x16x32_fp8_fp8 v[112:115], a[164:165], a[20:21], v[112:115]// 00000000C7FC: D3F30070 1DC229A4
	buffer_load_dword v57, s[20:23], 0 offen lds               // 00000000C804: E0511000 80050039
	s_add_u32 m0, 0x800, s48                                   // 00000000C80C: 807C30FF 00000800
	v_mfma_f32_16x16x32_fp8_fp8 v[112:115], a[166:167], a[22:23], v[112:115]// 00000000C814: D3F30070 1DC22DA6
	v_mfma_f32_16x16x32_fp8_fp8 v[132:135], a[168:169], a[16:17], v[132:135]// 00000000C81C: D3F30084 1E1221A8
	buffer_load_dword v58, s[20:23], 0 offen lds               // 00000000C824: E0511000 8005003A
	s_add_u32 m0, 0x900, s48                                   // 00000000C82C: 807C30FF 00000900
	v_mfma_f32_16x16x32_fp8_fp8 v[132:135], a[170:171], a[18:19], v[132:135]// 00000000C834: D3F30084 1E1225AA
	v_mfma_f32_16x16x32_fp8_fp8 v[132:135], a[172:173], a[20:21], v[132:135]// 00000000C83C: D3F30084 1E1229AC
	buffer_load_dword v59, s[20:23], 0 offen lds               // 00000000C844: E0511000 8005003B
	s_add_u32 m0, 0, s49                                       // 00000000C84C: 807C3180
	v_mfma_f32_16x16x32_fp8_fp8 v[132:135], a[174:175], a[22:23], v[132:135]// 00000000C850: D3F30084 1E122DAE
	v_mfma_f32_16x16x32_fp8_fp8 v[76:79], a[144:145], a[24:25], v[76:79]// 00000000C858: D3F3004C 1D323190
	v_mfma_f32_16x16x32_fp8_fp8 v[76:79], a[146:147], a[26:27], v[76:79]// 00000000C860: D3F3004C 1D323592
	v_mfma_f32_16x16x32_fp8_fp8 v[76:79], a[148:149], a[28:29], v[76:79]// 00000000C868: D3F3004C 1D323994
	v_mfma_f32_16x16x32_fp8_fp8 v[76:79], a[150:151], a[30:31], v[76:79]// 00000000C870: D3F3004C 1D323D96
	v_mfma_f32_16x16x32_fp8_fp8 v[96:99], a[152:153], a[24:25], v[96:99]// 00000000C878: D3F30060 1D823198
	v_mfma_f32_16x16x32_fp8_fp8 v[96:99], a[154:155], a[26:27], v[96:99]// 00000000C880: D3F30060 1D82359A
	v_mfma_f32_16x16x32_fp8_fp8 v[96:99], a[156:157], a[28:29], v[96:99]// 00000000C888: D3F30060 1D82399C
	v_mfma_f32_16x16x32_fp8_fp8 v[96:99], a[158:159], a[30:31], v[96:99]// 00000000C890: D3F30060 1D823D9E
	v_mfma_f32_16x16x32_fp8_fp8 v[116:119], a[160:161], a[24:25], v[116:119]// 00000000C898: D3F30074 1DD231A0
	v_mfma_f32_16x16x32_fp8_fp8 v[116:119], a[162:163], a[26:27], v[116:119]// 00000000C8A0: D3F30074 1DD235A2
	v_mfma_f32_16x16x32_fp8_fp8 v[116:119], a[164:165], a[28:29], v[116:119]// 00000000C8A8: D3F30074 1DD239A4
	v_mfma_f32_16x16x32_fp8_fp8 v[116:119], a[166:167], a[30:31], v[116:119]// 00000000C8B0: D3F30074 1DD23DA6
	v_mfma_f32_16x16x32_fp8_fp8 v[136:139], a[168:169], a[24:25], v[136:139]// 00000000C8B8: D3F30088 1E2231A8
	v_mfma_f32_16x16x32_fp8_fp8 v[136:139], a[170:171], a[26:27], v[136:139]// 00000000C8C0: D3F30088 1E2235AA
	v_mfma_f32_16x16x32_fp8_fp8 v[136:139], a[172:173], a[28:29], v[136:139]// 00000000C8C8: D3F30088 1E2239AC
	v_mfma_f32_16x16x32_fp8_fp8 v[136:139], a[174:175], a[30:31], v[136:139]// 00000000C8D0: D3F30088 1E223DAE
	v_mfma_f32_16x16x32_fp8_fp8 v[80:83], a[144:145], a[32:33], v[80:83]// 00000000C8D8: D3F30050 1D424190
	v_mfma_f32_16x16x32_fp8_fp8 v[80:83], a[146:147], a[34:35], v[80:83]// 00000000C8E0: D3F30050 1D424592
	v_mfma_f32_16x16x32_fp8_fp8 v[80:83], a[148:149], a[36:37], v[80:83]// 00000000C8E8: D3F30050 1D424994
	v_mfma_f32_16x16x32_fp8_fp8 v[80:83], a[150:151], a[38:39], v[80:83]// 00000000C8F0: D3F30050 1D424D96
	v_mfma_f32_16x16x32_fp8_fp8 v[100:103], a[152:153], a[32:33], v[100:103]// 00000000C8F8: D3F30064 1D924198
	v_mfma_f32_16x16x32_fp8_fp8 v[100:103], a[154:155], a[34:35], v[100:103]// 00000000C900: D3F30064 1D92459A
	v_mfma_f32_16x16x32_fp8_fp8 v[100:103], a[156:157], a[36:37], v[100:103]// 00000000C908: D3F30064 1D92499C
	v_mfma_f32_16x16x32_fp8_fp8 v[100:103], a[158:159], a[38:39], v[100:103]// 00000000C910: D3F30064 1D924D9E
	v_mfma_f32_16x16x32_fp8_fp8 v[120:123], a[160:161], a[32:33], v[120:123]// 00000000C918: D3F30078 1DE241A0
	v_mfma_f32_16x16x32_fp8_fp8 v[120:123], a[162:163], a[34:35], v[120:123]// 00000000C920: D3F30078 1DE245A2
	v_mfma_f32_16x16x32_fp8_fp8 v[120:123], a[164:165], a[36:37], v[120:123]// 00000000C928: D3F30078 1DE249A4
	v_mfma_f32_16x16x32_fp8_fp8 v[120:123], a[166:167], a[38:39], v[120:123]// 00000000C930: D3F30078 1DE24DA6
	v_mfma_f32_16x16x32_fp8_fp8 v[140:143], a[168:169], a[32:33], v[140:143]// 00000000C938: D3F3008C 1E3241A8
	v_mfma_f32_16x16x32_fp8_fp8 v[140:143], a[170:171], a[34:35], v[140:143]// 00000000C940: D3F3008C 1E3245AA
	v_mfma_f32_16x16x32_fp8_fp8 v[140:143], a[172:173], a[36:37], v[140:143]// 00000000C948: D3F3008C 1E3249AC
	v_mfma_f32_16x16x32_fp8_fp8 v[140:143], a[174:175], a[38:39], v[140:143]// 00000000C950: D3F3008C 1E324DAE
	s_waitcnt vmcnt(18)                                        // 00000000C958: BF8C4F72
	s_barrier                                                  // 00000000C95C: BF8A0000
	v_mfma_f32_16x16x32_fp8_fp8 v[144:147], a[80:81], a[0:1], v[144:147]// 00000000C960: D3F30090 1E420150
	buffer_load_dwordx4 a[144:147], v60, s[84:87], 0 offen     // 00000000C968: E05C1000 8095903C
	v_mfma_f32_16x16x32_fp8_fp8 v[144:147], a[82:83], a[2:3], v[144:147]// 00000000C970: D3F30090 1E420552
	v_mfma_f32_16x16x32_fp8_fp8 v[144:147], a[84:85], a[4:5], v[144:147]// 00000000C978: D3F30090 1E420954
	ds_read_b128 a[40:43], v2 offset:20736                     // 00000000C980: DBFE5100 28000002
	ds_read_b128 a[44:47], v2 offset:20800                     // 00000000C988: DBFE5140 2C000002
	v_mfma_f32_16x16x32_fp8_fp8 v[144:147], a[86:87], a[6:7], v[144:147]// 00000000C990: D3F30090 1E420D56
	v_mfma_f32_16x16x32_fp8_fp8 v[164:167], a[88:89], a[0:1], v[164:167]// 00000000C998: D3F300A4 1E920158
	buffer_load_dwordx4 a[148:151], v60, s[84:87], 0 offen offset:1024// 00000000C9A0: E05C1400 8095943C
	v_mfma_f32_16x16x32_fp8_fp8 v[164:167], a[90:91], a[2:3], v[164:167]// 00000000C9A8: D3F300A4 1E92055A
	v_mfma_f32_16x16x32_fp8_fp8 v[164:167], a[92:93], a[4:5], v[164:167]// 00000000C9B0: D3F300A4 1E92095C
	ds_read_b128 a[48:51], v2 offset:21248                     // 00000000C9B8: DBFE5300 30000002
	ds_read_b128 a[52:55], v2 offset:21312                     // 00000000C9C0: DBFE5340 34000002
	v_mfma_f32_16x16x32_fp8_fp8 v[164:167], a[94:95], a[6:7], v[164:167]// 00000000C9C8: D3F300A4 1E920D5E
	v_mfma_f32_16x16x32_fp8_fp8 v[184:187], a[96:97], a[0:1], v[184:187]// 00000000C9D0: D3F300B8 1EE20160
	buffer_load_dwordx4 a[152:155], v61, s[84:87], 0 offen     // 00000000C9D8: E05C1000 8095983D
	v_mfma_f32_16x16x32_fp8_fp8 v[184:187], a[98:99], a[2:3], v[184:187]// 00000000C9E0: D3F300B8 1EE20562
	v_mfma_f32_16x16x32_fp8_fp8 v[184:187], a[100:101], a[4:5], v[184:187]// 00000000C9E8: D3F300B8 1EE20964
	ds_read_b128 a[56:59], v2 offset:21760                     // 00000000C9F0: DBFE5500 38000002
	ds_read_b128 a[60:63], v2 offset:21824                     // 00000000C9F8: DBFE5540 3C000002
	v_mfma_f32_16x16x32_fp8_fp8 v[184:187], a[102:103], a[6:7], v[184:187]// 00000000CA00: D3F300B8 1EE20D66
	v_mfma_f32_16x16x32_fp8_fp8 v[204:207], a[104:105], a[0:1], v[204:207]// 00000000CA08: D3F300CC 1F320168
	buffer_load_dwordx4 a[156:159], v61, s[84:87], 0 offen offset:1024// 00000000CA10: E05C1400 80959C3D
	v_mfma_f32_16x16x32_fp8_fp8 v[204:207], a[106:107], a[2:3], v[204:207]// 00000000CA18: D3F300CC 1F32056A
	v_mfma_f32_16x16x32_fp8_fp8 v[204:207], a[108:109], a[4:5], v[204:207]// 00000000CA20: D3F300CC 1F32096C
	ds_read_b128 a[64:67], v2 offset:22272                     // 00000000CA28: DBFE5700 40000002
	ds_read_b128 a[68:71], v2 offset:22336                     // 00000000CA30: DBFE5740 44000002
	v_mfma_f32_16x16x32_fp8_fp8 v[204:207], a[110:111], a[6:7], v[204:207]// 00000000CA38: D3F300CC 1F320D6E
	v_mfma_f32_16x16x32_fp8_fp8 v[148:151], a[80:81], a[8:9], v[148:151]// 00000000CA40: D3F30094 1E521150
	buffer_load_dwordx4 a[160:163], v62, s[84:87], 0 offen     // 00000000CA48: E05C1000 8095A03E
	v_mfma_f32_16x16x32_fp8_fp8 v[148:151], a[82:83], a[10:11], v[148:151]// 00000000CA50: D3F30094 1E521552
	v_mfma_f32_16x16x32_fp8_fp8 v[148:151], a[84:85], a[12:13], v[148:151]// 00000000CA58: D3F30094 1E521954
	ds_read_b128 a[72:75], v2 offset:22784                     // 00000000CA60: DBFE5900 48000002
	ds_read_b128 a[76:79], v2 offset:22848                     // 00000000CA68: DBFE5940 4C000002
	v_mfma_f32_16x16x32_fp8_fp8 v[148:151], a[86:87], a[14:15], v[148:151]// 00000000CA70: D3F30094 1E521D56
	v_mfma_f32_16x16x32_fp8_fp8 v[168:171], a[88:89], a[8:9], v[168:171]// 00000000CA78: D3F300A8 1EA21158
	buffer_load_dwordx4 a[164:167], v62, s[84:87], 0 offen offset:1024// 00000000CA80: E05C1400 8095A43E
	v_mfma_f32_16x16x32_fp8_fp8 v[168:171], a[90:91], a[10:11], v[168:171]// 00000000CA88: D3F300A8 1EA2155A
	v_mfma_f32_16x16x32_fp8_fp8 v[168:171], a[92:93], a[12:13], v[168:171]// 00000000CA90: D3F300A8 1EA2195C
	v_mfma_f32_16x16x32_fp8_fp8 v[168:171], a[94:95], a[14:15], v[168:171]// 00000000CA98: D3F300A8 1EA21D5E
	v_mfma_f32_16x16x32_fp8_fp8 v[188:191], a[96:97], a[8:9], v[188:191]// 00000000CAA0: D3F300BC 1EF21160
	buffer_load_dwordx4 a[168:171], v63, s[84:87], 0 offen     // 00000000CAA8: E05C1000 8095A83F
	v_mfma_f32_16x16x32_fp8_fp8 v[188:191], a[98:99], a[10:11], v[188:191]// 00000000CAB0: D3F300BC 1EF21562
	v_mfma_f32_16x16x32_fp8_fp8 v[188:191], a[100:101], a[12:13], v[188:191]// 00000000CAB8: D3F300BC 1EF21964
	v_mfma_f32_16x16x32_fp8_fp8 v[188:191], a[102:103], a[14:15], v[188:191]// 00000000CAC0: D3F300BC 1EF21D66
	v_mfma_f32_16x16x32_fp8_fp8 v[208:211], a[104:105], a[8:9], v[208:211]// 00000000CAC8: D3F300D0 1F421168
	buffer_load_dwordx4 a[172:175], v63, s[84:87], 0 offen offset:1024// 00000000CAD0: E05C1400 8095AC3F
	v_mfma_f32_16x16x32_fp8_fp8 v[208:211], a[106:107], a[10:11], v[208:211]// 00000000CAD8: D3F300D0 1F42156A
	v_mfma_f32_16x16x32_fp8_fp8 v[208:211], a[108:109], a[12:13], v[208:211]// 00000000CAE0: D3F300D0 1F42196C
	v_mfma_f32_16x16x32_fp8_fp8 v[208:211], a[110:111], a[14:15], v[208:211]// 00000000CAE8: D3F300D0 1F421D6E
	v_mfma_f32_16x16x32_fp8_fp8 v[152:155], a[80:81], a[16:17], v[152:155]// 00000000CAF0: D3F30098 1E622150
	v_mfma_f32_16x16x32_fp8_fp8 v[152:155], a[82:83], a[18:19], v[152:155]// 00000000CAF8: D3F30098 1E622552
	v_mfma_f32_16x16x32_fp8_fp8 v[152:155], a[84:85], a[20:21], v[152:155]// 00000000CB00: D3F30098 1E622954
	v_mfma_f32_16x16x32_fp8_fp8 v[152:155], a[86:87], a[22:23], v[152:155]// 00000000CB08: D3F30098 1E622D56
	v_mfma_f32_16x16x32_fp8_fp8 v[172:175], a[88:89], a[16:17], v[172:175]// 00000000CB10: D3F300AC 1EB22158
	v_mfma_f32_16x16x32_fp8_fp8 v[172:175], a[90:91], a[18:19], v[172:175]// 00000000CB18: D3F300AC 1EB2255A
	v_mfma_f32_16x16x32_fp8_fp8 v[172:175], a[92:93], a[20:21], v[172:175]// 00000000CB20: D3F300AC 1EB2295C
	v_mfma_f32_16x16x32_fp8_fp8 v[172:175], a[94:95], a[22:23], v[172:175]// 00000000CB28: D3F300AC 1EB22D5E
	v_mfma_f32_16x16x32_fp8_fp8 v[192:195], a[96:97], a[16:17], v[192:195]// 00000000CB30: D3F300C0 1F022160
	v_mfma_f32_16x16x32_fp8_fp8 v[192:195], a[98:99], a[18:19], v[192:195]// 00000000CB38: D3F300C0 1F022562
	v_mfma_f32_16x16x32_fp8_fp8 v[192:195], a[100:101], a[20:21], v[192:195]// 00000000CB40: D3F300C0 1F022964
	v_mfma_f32_16x16x32_fp8_fp8 v[192:195], a[102:103], a[22:23], v[192:195]// 00000000CB48: D3F300C0 1F022D66
	v_mfma_f32_16x16x32_fp8_fp8 v[212:215], a[104:105], a[16:17], v[212:215]// 00000000CB50: D3F300D4 1F522168
	v_mfma_f32_16x16x32_fp8_fp8 v[212:215], a[106:107], a[18:19], v[212:215]// 00000000CB58: D3F300D4 1F52256A
	v_mfma_f32_16x16x32_fp8_fp8 v[212:215], a[108:109], a[20:21], v[212:215]// 00000000CB60: D3F300D4 1F52296C
	v_mfma_f32_16x16x32_fp8_fp8 v[212:215], a[110:111], a[22:23], v[212:215]// 00000000CB68: D3F300D4 1F522D6E
	v_mfma_f32_16x16x32_fp8_fp8 v[156:159], a[80:81], a[24:25], v[156:159]// 00000000CB70: D3F3009C 1E723150
	v_mfma_f32_16x16x32_fp8_fp8 v[156:159], a[82:83], a[26:27], v[156:159]// 00000000CB78: D3F3009C 1E723552
	v_mfma_f32_16x16x32_fp8_fp8 v[156:159], a[84:85], a[28:29], v[156:159]// 00000000CB80: D3F3009C 1E723954
	v_mfma_f32_16x16x32_fp8_fp8 v[156:159], a[86:87], a[30:31], v[156:159]// 00000000CB88: D3F3009C 1E723D56
	v_mfma_f32_16x16x32_fp8_fp8 v[176:179], a[88:89], a[24:25], v[176:179]// 00000000CB90: D3F300B0 1EC23158
	v_mfma_f32_16x16x32_fp8_fp8 v[176:179], a[90:91], a[26:27], v[176:179]// 00000000CB98: D3F300B0 1EC2355A
	v_mfma_f32_16x16x32_fp8_fp8 v[176:179], a[92:93], a[28:29], v[176:179]// 00000000CBA0: D3F300B0 1EC2395C
	v_mfma_f32_16x16x32_fp8_fp8 v[176:179], a[94:95], a[30:31], v[176:179]// 00000000CBA8: D3F300B0 1EC23D5E
	v_mfma_f32_16x16x32_fp8_fp8 v[196:199], a[96:97], a[24:25], v[196:199]// 00000000CBB0: D3F300C4 1F123160
	v_mfma_f32_16x16x32_fp8_fp8 v[196:199], a[98:99], a[26:27], v[196:199]// 00000000CBB8: D3F300C4 1F123562
	v_mfma_f32_16x16x32_fp8_fp8 v[196:199], a[100:101], a[28:29], v[196:199]// 00000000CBC0: D3F300C4 1F123964
	v_mfma_f32_16x16x32_fp8_fp8 v[196:199], a[102:103], a[30:31], v[196:199]// 00000000CBC8: D3F300C4 1F123D66
	v_mfma_f32_16x16x32_fp8_fp8 v[216:219], a[104:105], a[24:25], v[216:219]// 00000000CBD0: D3F300D8 1F623168
	v_mfma_f32_16x16x32_fp8_fp8 v[216:219], a[106:107], a[26:27], v[216:219]// 00000000CBD8: D3F300D8 1F62356A
	v_mfma_f32_16x16x32_fp8_fp8 v[216:219], a[108:109], a[28:29], v[216:219]// 00000000CBE0: D3F300D8 1F62396C
	v_mfma_f32_16x16x32_fp8_fp8 v[216:219], a[110:111], a[30:31], v[216:219]// 00000000CBE8: D3F300D8 1F623D6E
	v_mfma_f32_16x16x32_fp8_fp8 v[160:163], a[80:81], a[32:33], v[160:163]// 00000000CBF0: D3F300A0 1E824150
	v_mfma_f32_16x16x32_fp8_fp8 v[160:163], a[82:83], a[34:35], v[160:163]// 00000000CBF8: D3F300A0 1E824552
	v_mfma_f32_16x16x32_fp8_fp8 v[160:163], a[84:85], a[36:37], v[160:163]// 00000000CC00: D3F300A0 1E824954
	v_mfma_f32_16x16x32_fp8_fp8 v[160:163], a[86:87], a[38:39], v[160:163]// 00000000CC08: D3F300A0 1E824D56
	v_mfma_f32_16x16x32_fp8_fp8 v[180:183], a[88:89], a[32:33], v[180:183]// 00000000CC10: D3F300B4 1ED24158
	v_mfma_f32_16x16x32_fp8_fp8 v[180:183], a[90:91], a[34:35], v[180:183]// 00000000CC18: D3F300B4 1ED2455A
	v_mfma_f32_16x16x32_fp8_fp8 v[180:183], a[92:93], a[36:37], v[180:183]// 00000000CC20: D3F300B4 1ED2495C
	v_mfma_f32_16x16x32_fp8_fp8 v[180:183], a[94:95], a[38:39], v[180:183]// 00000000CC28: D3F300B4 1ED24D5E
	v_mfma_f32_16x16x32_fp8_fp8 v[200:203], a[96:97], a[32:33], v[200:203]// 00000000CC30: D3F300C8 1F224160
	s_add_u32 s60, 0x180, s80                                  // 00000000CC38: 803C50FF 00000180
	s_cmp_lt_u32 s60, s81                                      // 00000000CC40: BF0A513C
	s_cselect_b32 s57, s57, 0                                  // 00000000CC44: 85398039
	v_mfma_f32_16x16x32_fp8_fp8 v[200:203], a[98:99], a[34:35], v[200:203]// 00000000CC48: D3F300C8 1F224562
	s_add_u32 s60, 0x100, s80                                  // 00000000CC50: 803C50FF 00000100
	s_cmp_lt_u32 s60, s81                                      // 00000000CC58: BF0A513C
	s_cselect_b32 s58, s58, 0                                  // 00000000CC5C: 853A803A
	v_mfma_f32_16x16x32_fp8_fp8 v[200:203], a[100:101], a[36:37], v[200:203]// 00000000CC60: D3F300C8 1F224964
	s_add_u32 s60, 0x100, s80                                  // 00000000CC68: 803C50FF 00000100
	s_cmp_lt_u32 s60, s81                                      // 00000000CC70: BF0A513C
	s_cselect_b32 s83, s83, 0                                  // 00000000CC74: 85538053
	v_mfma_f32_16x16x32_fp8_fp8 v[200:203], a[102:103], a[38:39], v[200:203]// 00000000CC78: D3F300C8 1F224D66
	s_add_u32 s24, s58, s24                                    // 00000000CC80: 8018183A
	s_addc_u32 s25, 0, s25                                     // 00000000CC84: 82191980
	v_mfma_f32_16x16x32_fp8_fp8 v[220:223], a[104:105], a[32:33], v[220:223]// 00000000CC88: D3F300DC 1F724168
	s_add_u32 s20, s57, s20                                    // 00000000CC90: 80141439
	s_addc_u32 s21, 0, s21                                     // 00000000CC94: 82151580
	v_mfma_f32_16x16x32_fp8_fp8 v[220:223], a[106:107], a[34:35], v[220:223]// 00000000CC98: D3F300DC 1F72456A
	s_add_u32 s84, s83, s84                                    // 00000000CCA0: 80545453
	s_addc_u32 s85, 0, s85                                     // 00000000CCA4: 82555580
	v_mfma_f32_16x16x32_fp8_fp8 v[220:223], a[108:109], a[36:37], v[220:223]// 00000000CCA8: D3F300DC 1F72496C
	v_mfma_f32_16x16x32_fp8_fp8 v[220:223], a[110:111], a[38:39], v[220:223]// 00000000CCB0: D3F300DC 1F724D6E
	s_addk_i32 s80, 0x80                                       // 00000000CCB8: B7500080
	s_cmp_lt_i32 s80, s81                                      // 00000000CCBC: BF045150
	s_cbranch_scc0 label_2A68                                  // 00000000CCC0: BF8401B4
	s_waitcnt vmcnt(18) lgkmcnt(0)                             // 00000000CCC4: BF8C4072
	v_mfma_f32_16x16x32_fp8_fp8 v[64:67], a[112:113], a[40:41], v[64:67]// 00000000CCC8: D3F30040 1D025170
	buffer_load_dwordx4 a[80:83], v60, s[24:27], 0 offen       // 00000000CCD0: E05C1000 8086503C
	v_mfma_f32_16x16x32_fp8_fp8 v[64:67], a[114:115], a[42:43], v[64:67]// 00000000CCD8: D3F30040 1D025572
	v_mfma_f32_16x16x32_fp8_fp8 v[64:67], a[116:117], a[44:45], v[64:67]// 00000000CCE0: D3F30040 1D025974
	v_mfma_f32_16x16x32_fp8_fp8 v[64:67], a[118:119], a[46:47], v[64:67]// 00000000CCE8: D3F30040 1D025D76
	v_mfma_f32_16x16x32_fp8_fp8 v[84:87], a[120:121], a[40:41], v[84:87]// 00000000CCF0: D3F30054 1D525178
	buffer_load_dwordx4 a[84:87], v60, s[24:27], 0 offen offset:1024// 00000000CCF8: E05C1400 8086543C
	v_mfma_f32_16x16x32_fp8_fp8 v[84:87], a[122:123], a[42:43], v[84:87]// 00000000CD00: D3F30054 1D52557A
	v_mfma_f32_16x16x32_fp8_fp8 v[84:87], a[124:125], a[44:45], v[84:87]// 00000000CD08: D3F30054 1D52597C
	v_mfma_f32_16x16x32_fp8_fp8 v[84:87], a[126:127], a[46:47], v[84:87]// 00000000CD10: D3F30054 1D525D7E
	v_mfma_f32_16x16x32_fp8_fp8 v[104:107], a[128:129], a[40:41], v[104:107]// 00000000CD18: D3F30068 1DA25180
	buffer_load_dwordx4 a[88:91], v61, s[24:27], 0 offen       // 00000000CD20: E05C1000 8086583D
	v_mfma_f32_16x16x32_fp8_fp8 v[104:107], a[130:131], a[42:43], v[104:107]// 00000000CD28: D3F30068 1DA25582
	v_mfma_f32_16x16x32_fp8_fp8 v[104:107], a[132:133], a[44:45], v[104:107]// 00000000CD30: D3F30068 1DA25984
	v_mfma_f32_16x16x32_fp8_fp8 v[104:107], a[134:135], a[46:47], v[104:107]// 00000000CD38: D3F30068 1DA25D86
	v_mfma_f32_16x16x32_fp8_fp8 v[124:127], a[136:137], a[40:41], v[124:127]// 00000000CD40: D3F3007C 1DF25188
	buffer_load_dwordx4 a[92:95], v61, s[24:27], 0 offen offset:1024// 00000000CD48: E05C1400 80865C3D
	v_mfma_f32_16x16x32_fp8_fp8 v[124:127], a[138:139], a[42:43], v[124:127]// 00000000CD50: D3F3007C 1DF2558A
	v_mfma_f32_16x16x32_fp8_fp8 v[124:127], a[140:141], a[44:45], v[124:127]// 00000000CD58: D3F3007C 1DF2598C
	v_mfma_f32_16x16x32_fp8_fp8 v[124:127], a[142:143], a[46:47], v[124:127]// 00000000CD60: D3F3007C 1DF25D8E
	v_mfma_f32_16x16x32_fp8_fp8 v[68:71], a[112:113], a[48:49], v[68:71]// 00000000CD68: D3F30044 1D126170
	buffer_load_dwordx4 a[96:99], v62, s[24:27], 0 offen       // 00000000CD70: E05C1000 8086603E
	v_mfma_f32_16x16x32_fp8_fp8 v[68:71], a[114:115], a[50:51], v[68:71]// 00000000CD78: D3F30044 1D126572
	v_mfma_f32_16x16x32_fp8_fp8 v[68:71], a[116:117], a[52:53], v[68:71]// 00000000CD80: D3F30044 1D126974
	v_mfma_f32_16x16x32_fp8_fp8 v[68:71], a[118:119], a[54:55], v[68:71]// 00000000CD88: D3F30044 1D126D76
	v_mfma_f32_16x16x32_fp8_fp8 v[88:91], a[120:121], a[48:49], v[88:91]// 00000000CD90: D3F30058 1D626178
	buffer_load_dwordx4 a[100:103], v62, s[24:27], 0 offen offset:1024// 00000000CD98: E05C1400 8086643E
	v_mfma_f32_16x16x32_fp8_fp8 v[88:91], a[122:123], a[50:51], v[88:91]// 00000000CDA0: D3F30058 1D62657A
	v_mfma_f32_16x16x32_fp8_fp8 v[88:91], a[124:125], a[52:53], v[88:91]// 00000000CDA8: D3F30058 1D62697C
	v_mfma_f32_16x16x32_fp8_fp8 v[88:91], a[126:127], a[54:55], v[88:91]// 00000000CDB0: D3F30058 1D626D7E
	v_mfma_f32_16x16x32_fp8_fp8 v[108:111], a[128:129], a[48:49], v[108:111]// 00000000CDB8: D3F3006C 1DB26180
	buffer_load_dwordx4 a[104:107], v63, s[24:27], 0 offen     // 00000000CDC0: E05C1000 8086683F
	v_mfma_f32_16x16x32_fp8_fp8 v[108:111], a[130:131], a[50:51], v[108:111]// 00000000CDC8: D3F3006C 1DB26582
	v_mfma_f32_16x16x32_fp8_fp8 v[108:111], a[132:133], a[52:53], v[108:111]// 00000000CDD0: D3F3006C 1DB26984
	v_mfma_f32_16x16x32_fp8_fp8 v[108:111], a[134:135], a[54:55], v[108:111]// 00000000CDD8: D3F3006C 1DB26D86
	v_mfma_f32_16x16x32_fp8_fp8 v[128:131], a[136:137], a[48:49], v[128:131]// 00000000CDE0: D3F30080 1E026188
	buffer_load_dwordx4 a[108:111], v63, s[24:27], 0 offen offset:1024// 00000000CDE8: E05C1400 80866C3F
	buffer_load_dword v50, s[20:23], 0 offen lds               // 00000000CDF0: E0511000 80050032
	s_add_u32 m0, 0x100, s49                                   // 00000000CDF8: 807C31FF 00000100
	v_mfma_f32_16x16x32_fp8_fp8 v[128:131], a[138:139], a[50:51], v[128:131]// 00000000CE00: D3F30080 1E02658A
	v_mfma_f32_16x16x32_fp8_fp8 v[128:131], a[140:141], a[52:53], v[128:131]// 00000000CE08: D3F30080 1E02698C
	buffer_load_dword v51, s[20:23], 0 offen lds               // 00000000CE10: E0511000 80050033
	s_add_u32 m0, 0x200, s49                                   // 00000000CE18: 807C31FF 00000200
	v_mfma_f32_16x16x32_fp8_fp8 v[128:131], a[142:143], a[54:55], v[128:131]// 00000000CE20: D3F30080 1E026D8E
	v_mfma_f32_16x16x32_fp8_fp8 v[72:75], a[112:113], a[56:57], v[72:75]// 00000000CE28: D3F30048 1D227170
	buffer_load_dword v52, s[20:23], 0 offen lds               // 00000000CE30: E0511000 80050034
	s_add_u32 m0, 0x300, s49                                   // 00000000CE38: 807C31FF 00000300
	v_mfma_f32_16x16x32_fp8_fp8 v[72:75], a[114:115], a[58:59], v[72:75]// 00000000CE40: D3F30048 1D227572
	v_mfma_f32_16x16x32_fp8_fp8 v[72:75], a[116:117], a[60:61], v[72:75]// 00000000CE48: D3F30048 1D227974
	buffer_load_dword v53, s[20:23], 0 offen lds               // 00000000CE50: E0511000 80050035
	s_add_u32 m0, 0x400, s49                                   // 00000000CE58: 807C31FF 00000400
	v_mfma_f32_16x16x32_fp8_fp8 v[72:75], a[118:119], a[62:63], v[72:75]// 00000000CE60: D3F30048 1D227D76
	v_mfma_f32_16x16x32_fp8_fp8 v[92:95], a[120:121], a[56:57], v[92:95]// 00000000CE68: D3F3005C 1D727178
	buffer_load_dword v54, s[20:23], 0 offen lds               // 00000000CE70: E0511000 80050036
	s_add_u32 m0, 0x500, s49                                   // 00000000CE78: 807C31FF 00000500
	v_mfma_f32_16x16x32_fp8_fp8 v[92:95], a[122:123], a[58:59], v[92:95]// 00000000CE80: D3F3005C 1D72757A
	v_mfma_f32_16x16x32_fp8_fp8 v[92:95], a[124:125], a[60:61], v[92:95]// 00000000CE88: D3F3005C 1D72797C
	buffer_load_dword v55, s[20:23], 0 offen lds               // 00000000CE90: E0511000 80050037
	s_add_u32 m0, 0x600, s49                                   // 00000000CE98: 807C31FF 00000600
	v_mfma_f32_16x16x32_fp8_fp8 v[92:95], a[126:127], a[62:63], v[92:95]// 00000000CEA0: D3F3005C 1D727D7E
	v_mfma_f32_16x16x32_fp8_fp8 v[112:115], a[128:129], a[56:57], v[112:115]// 00000000CEA8: D3F30070 1DC27180
	buffer_load_dword v56, s[20:23], 0 offen lds               // 00000000CEB0: E0511000 80050038
	s_add_u32 m0, 0x700, s49                                   // 00000000CEB8: 807C31FF 00000700
	v_mfma_f32_16x16x32_fp8_fp8 v[112:115], a[130:131], a[58:59], v[112:115]// 00000000CEC0: D3F30070 1DC27582
	v_mfma_f32_16x16x32_fp8_fp8 v[112:115], a[132:133], a[60:61], v[112:115]// 00000000CEC8: D3F30070 1DC27984
	buffer_load_dword v57, s[20:23], 0 offen lds               // 00000000CED0: E0511000 80050039
	s_add_u32 m0, 0x800, s49                                   // 00000000CED8: 807C31FF 00000800
	v_mfma_f32_16x16x32_fp8_fp8 v[112:115], a[134:135], a[62:63], v[112:115]// 00000000CEE0: D3F30070 1DC27D86
	v_mfma_f32_16x16x32_fp8_fp8 v[132:135], a[136:137], a[56:57], v[132:135]// 00000000CEE8: D3F30084 1E127188
	buffer_load_dword v58, s[20:23], 0 offen lds               // 00000000CEF0: E0511000 8005003A
	s_add_u32 m0, 0x900, s49                                   // 00000000CEF8: 807C31FF 00000900
	v_mfma_f32_16x16x32_fp8_fp8 v[132:135], a[138:139], a[58:59], v[132:135]// 00000000CF00: D3F30084 1E12758A
	v_mfma_f32_16x16x32_fp8_fp8 v[132:135], a[140:141], a[60:61], v[132:135]// 00000000CF08: D3F30084 1E12798C
	buffer_load_dword v59, s[20:23], 0 offen lds               // 00000000CF10: E0511000 8005003B
	s_add_u32 m0, 0, s50                                       // 00000000CF18: 807C3280
	v_mfma_f32_16x16x32_fp8_fp8 v[132:135], a[142:143], a[62:63], v[132:135]// 00000000CF1C: D3F30084 1E127D8E
	v_mfma_f32_16x16x32_fp8_fp8 v[76:79], a[112:113], a[64:65], v[76:79]// 00000000CF24: D3F3004C 1D328170
	v_mfma_f32_16x16x32_fp8_fp8 v[76:79], a[114:115], a[66:67], v[76:79]// 00000000CF2C: D3F3004C 1D328572
	v_mfma_f32_16x16x32_fp8_fp8 v[76:79], a[116:117], a[68:69], v[76:79]// 00000000CF34: D3F3004C 1D328974
	v_mfma_f32_16x16x32_fp8_fp8 v[76:79], a[118:119], a[70:71], v[76:79]// 00000000CF3C: D3F3004C 1D328D76
	v_mfma_f32_16x16x32_fp8_fp8 v[96:99], a[120:121], a[64:65], v[96:99]// 00000000CF44: D3F30060 1D828178
	v_mfma_f32_16x16x32_fp8_fp8 v[96:99], a[122:123], a[66:67], v[96:99]// 00000000CF4C: D3F30060 1D82857A
	v_mfma_f32_16x16x32_fp8_fp8 v[96:99], a[124:125], a[68:69], v[96:99]// 00000000CF54: D3F30060 1D82897C
	v_mfma_f32_16x16x32_fp8_fp8 v[96:99], a[126:127], a[70:71], v[96:99]// 00000000CF5C: D3F30060 1D828D7E
	v_mfma_f32_16x16x32_fp8_fp8 v[116:119], a[128:129], a[64:65], v[116:119]// 00000000CF64: D3F30074 1DD28180
	v_mfma_f32_16x16x32_fp8_fp8 v[116:119], a[130:131], a[66:67], v[116:119]// 00000000CF6C: D3F30074 1DD28582
	v_mfma_f32_16x16x32_fp8_fp8 v[116:119], a[132:133], a[68:69], v[116:119]// 00000000CF74: D3F30074 1DD28984
	v_mfma_f32_16x16x32_fp8_fp8 v[116:119], a[134:135], a[70:71], v[116:119]// 00000000CF7C: D3F30074 1DD28D86
	v_mfma_f32_16x16x32_fp8_fp8 v[136:139], a[136:137], a[64:65], v[136:139]// 00000000CF84: D3F30088 1E228188
	v_mfma_f32_16x16x32_fp8_fp8 v[136:139], a[138:139], a[66:67], v[136:139]// 00000000CF8C: D3F30088 1E22858A
	v_mfma_f32_16x16x32_fp8_fp8 v[136:139], a[140:141], a[68:69], v[136:139]// 00000000CF94: D3F30088 1E22898C
	v_mfma_f32_16x16x32_fp8_fp8 v[136:139], a[142:143], a[70:71], v[136:139]// 00000000CF9C: D3F30088 1E228D8E
	v_mfma_f32_16x16x32_fp8_fp8 v[80:83], a[112:113], a[72:73], v[80:83]// 00000000CFA4: D3F30050 1D429170
	v_mfma_f32_16x16x32_fp8_fp8 v[80:83], a[114:115], a[74:75], v[80:83]// 00000000CFAC: D3F30050 1D429572
	v_mfma_f32_16x16x32_fp8_fp8 v[80:83], a[116:117], a[76:77], v[80:83]// 00000000CFB4: D3F30050 1D429974
	v_mfma_f32_16x16x32_fp8_fp8 v[80:83], a[118:119], a[78:79], v[80:83]// 00000000CFBC: D3F30050 1D429D76
	v_mfma_f32_16x16x32_fp8_fp8 v[100:103], a[120:121], a[72:73], v[100:103]// 00000000CFC4: D3F30064 1D929178
	v_mfma_f32_16x16x32_fp8_fp8 v[100:103], a[122:123], a[74:75], v[100:103]// 00000000CFCC: D3F30064 1D92957A
	v_mfma_f32_16x16x32_fp8_fp8 v[100:103], a[124:125], a[76:77], v[100:103]// 00000000CFD4: D3F30064 1D92997C
	v_mfma_f32_16x16x32_fp8_fp8 v[100:103], a[126:127], a[78:79], v[100:103]// 00000000CFDC: D3F30064 1D929D7E
	v_mfma_f32_16x16x32_fp8_fp8 v[120:123], a[128:129], a[72:73], v[120:123]// 00000000CFE4: D3F30078 1DE29180
	v_mfma_f32_16x16x32_fp8_fp8 v[120:123], a[130:131], a[74:75], v[120:123]// 00000000CFEC: D3F30078 1DE29582
	v_mfma_f32_16x16x32_fp8_fp8 v[120:123], a[132:133], a[76:77], v[120:123]// 00000000CFF4: D3F30078 1DE29984
	v_mfma_f32_16x16x32_fp8_fp8 v[120:123], a[134:135], a[78:79], v[120:123]// 00000000CFFC: D3F30078 1DE29D86
	v_mfma_f32_16x16x32_fp8_fp8 v[140:143], a[136:137], a[72:73], v[140:143]// 00000000D004: D3F3008C 1E329188
	v_mfma_f32_16x16x32_fp8_fp8 v[140:143], a[138:139], a[74:75], v[140:143]// 00000000D00C: D3F3008C 1E32958A
	v_mfma_f32_16x16x32_fp8_fp8 v[140:143], a[140:141], a[76:77], v[140:143]// 00000000D014: D3F3008C 1E32998C
	v_mfma_f32_16x16x32_fp8_fp8 v[140:143], a[142:143], a[78:79], v[140:143]// 00000000D01C: D3F3008C 1E329D8E
	s_waitcnt vmcnt(18)                                        // 00000000D024: BF8C4F72
	s_barrier                                                  // 00000000D028: BF8A0000
	v_mfma_f32_16x16x32_fp8_fp8 v[144:147], a[144:145], a[40:41], v[144:147]// 00000000D02C: D3F30090 1E425190
	buffer_load_dwordx4 a[112:115], v60, s[84:87], 0 offen     // 00000000D034: E05C1000 8095703C
	v_mfma_f32_16x16x32_fp8_fp8 v[144:147], a[146:147], a[42:43], v[144:147]// 00000000D03C: D3F30090 1E425592
	v_mfma_f32_16x16x32_fp8_fp8 v[144:147], a[148:149], a[44:45], v[144:147]// 00000000D044: D3F30090 1E425994
	ds_read_b128 a[0:3], v2                                    // 00000000D04C: DBFE0000 00000002
	ds_read_b128 a[4:7], v2 offset:64                          // 00000000D054: DBFE0040 04000002
	v_mfma_f32_16x16x32_fp8_fp8 v[144:147], a[150:151], a[46:47], v[144:147]// 00000000D05C: D3F30090 1E425D96
	v_mfma_f32_16x16x32_fp8_fp8 v[164:167], a[152:153], a[40:41], v[164:167]// 00000000D064: D3F300A4 1E925198
	buffer_load_dwordx4 a[116:119], v60, s[84:87], 0 offen offset:1024// 00000000D06C: E05C1400 8095743C
	v_mfma_f32_16x16x32_fp8_fp8 v[164:167], a[154:155], a[42:43], v[164:167]// 00000000D074: D3F300A4 1E92559A
	v_mfma_f32_16x16x32_fp8_fp8 v[164:167], a[156:157], a[44:45], v[164:167]// 00000000D07C: D3F300A4 1E92599C
	ds_read_b128 a[8:11], v2 offset:512                        // 00000000D084: DBFE0200 08000002
	ds_read_b128 a[12:15], v2 offset:576                       // 00000000D08C: DBFE0240 0C000002
	v_mfma_f32_16x16x32_fp8_fp8 v[164:167], a[158:159], a[46:47], v[164:167]// 00000000D094: D3F300A4 1E925D9E
	v_mfma_f32_16x16x32_fp8_fp8 v[184:187], a[160:161], a[40:41], v[184:187]// 00000000D09C: D3F300B8 1EE251A0
	buffer_load_dwordx4 a[120:123], v61, s[84:87], 0 offen     // 00000000D0A4: E05C1000 8095783D
	v_mfma_f32_16x16x32_fp8_fp8 v[184:187], a[162:163], a[42:43], v[184:187]// 00000000D0AC: D3F300B8 1EE255A2
	v_mfma_f32_16x16x32_fp8_fp8 v[184:187], a[164:165], a[44:45], v[184:187]// 00000000D0B4: D3F300B8 1EE259A4
	ds_read_b128 a[16:19], v2 offset:1024                      // 00000000D0BC: DBFE0400 10000002
	ds_read_b128 a[20:23], v2 offset:1088                      // 00000000D0C4: DBFE0440 14000002
	v_mfma_f32_16x16x32_fp8_fp8 v[184:187], a[166:167], a[46:47], v[184:187]// 00000000D0CC: D3F300B8 1EE25DA6
	v_mfma_f32_16x16x32_fp8_fp8 v[204:207], a[168:169], a[40:41], v[204:207]// 00000000D0D4: D3F300CC 1F3251A8
	buffer_load_dwordx4 a[124:127], v61, s[84:87], 0 offen offset:1024// 00000000D0DC: E05C1400 80957C3D
	v_mfma_f32_16x16x32_fp8_fp8 v[204:207], a[170:171], a[42:43], v[204:207]// 00000000D0E4: D3F300CC 1F3255AA
	v_mfma_f32_16x16x32_fp8_fp8 v[204:207], a[172:173], a[44:45], v[204:207]// 00000000D0EC: D3F300CC 1F3259AC
	ds_read_b128 a[24:27], v2 offset:1536                      // 00000000D0F4: DBFE0600 18000002
	ds_read_b128 a[28:31], v2 offset:1600                      // 00000000D0FC: DBFE0640 1C000002
	v_mfma_f32_16x16x32_fp8_fp8 v[204:207], a[174:175], a[46:47], v[204:207]// 00000000D104: D3F300CC 1F325DAE
	v_mfma_f32_16x16x32_fp8_fp8 v[148:151], a[144:145], a[48:49], v[148:151]// 00000000D10C: D3F30094 1E526190
	buffer_load_dwordx4 a[128:131], v62, s[84:87], 0 offen     // 00000000D114: E05C1000 8095803E
	v_mfma_f32_16x16x32_fp8_fp8 v[148:151], a[146:147], a[50:51], v[148:151]// 00000000D11C: D3F30094 1E526592
	v_mfma_f32_16x16x32_fp8_fp8 v[148:151], a[148:149], a[52:53], v[148:151]// 00000000D124: D3F30094 1E526994
	ds_read_b128 a[32:35], v2 offset:2048                      // 00000000D12C: DBFE0800 20000002
	ds_read_b128 a[36:39], v2 offset:2112                      // 00000000D134: DBFE0840 24000002
	v_mfma_f32_16x16x32_fp8_fp8 v[148:151], a[150:151], a[54:55], v[148:151]// 00000000D13C: D3F30094 1E526D96
	v_mfma_f32_16x16x32_fp8_fp8 v[168:171], a[152:153], a[48:49], v[168:171]// 00000000D144: D3F300A8 1EA26198
	buffer_load_dwordx4 a[132:135], v62, s[84:87], 0 offen offset:1024// 00000000D14C: E05C1400 8095843E
	v_mfma_f32_16x16x32_fp8_fp8 v[168:171], a[154:155], a[50:51], v[168:171]// 00000000D154: D3F300A8 1EA2659A
	v_mfma_f32_16x16x32_fp8_fp8 v[168:171], a[156:157], a[52:53], v[168:171]// 00000000D15C: D3F300A8 1EA2699C
	v_mfma_f32_16x16x32_fp8_fp8 v[168:171], a[158:159], a[54:55], v[168:171]// 00000000D164: D3F300A8 1EA26D9E
	v_mfma_f32_16x16x32_fp8_fp8 v[188:191], a[160:161], a[48:49], v[188:191]// 00000000D16C: D3F300BC 1EF261A0
	buffer_load_dwordx4 a[136:139], v63, s[84:87], 0 offen     // 00000000D174: E05C1000 8095883F
	v_mfma_f32_16x16x32_fp8_fp8 v[188:191], a[162:163], a[50:51], v[188:191]// 00000000D17C: D3F300BC 1EF265A2
	v_mfma_f32_16x16x32_fp8_fp8 v[188:191], a[164:165], a[52:53], v[188:191]// 00000000D184: D3F300BC 1EF269A4
	v_mfma_f32_16x16x32_fp8_fp8 v[188:191], a[166:167], a[54:55], v[188:191]// 00000000D18C: D3F300BC 1EF26DA6
	v_mfma_f32_16x16x32_fp8_fp8 v[208:211], a[168:169], a[48:49], v[208:211]// 00000000D194: D3F300D0 1F4261A8
	buffer_load_dwordx4 a[140:143], v63, s[84:87], 0 offen offset:1024// 00000000D19C: E05C1400 80958C3F
	v_mfma_f32_16x16x32_fp8_fp8 v[208:211], a[170:171], a[50:51], v[208:211]// 00000000D1A4: D3F300D0 1F4265AA
	v_mfma_f32_16x16x32_fp8_fp8 v[208:211], a[172:173], a[52:53], v[208:211]// 00000000D1AC: D3F300D0 1F4269AC
	v_mfma_f32_16x16x32_fp8_fp8 v[208:211], a[174:175], a[54:55], v[208:211]// 00000000D1B4: D3F300D0 1F426DAE
	v_mfma_f32_16x16x32_fp8_fp8 v[152:155], a[144:145], a[56:57], v[152:155]// 00000000D1BC: D3F30098 1E627190
	v_mfma_f32_16x16x32_fp8_fp8 v[152:155], a[146:147], a[58:59], v[152:155]// 00000000D1C4: D3F30098 1E627592
	v_mfma_f32_16x16x32_fp8_fp8 v[152:155], a[148:149], a[60:61], v[152:155]// 00000000D1CC: D3F30098 1E627994
	v_mfma_f32_16x16x32_fp8_fp8 v[152:155], a[150:151], a[62:63], v[152:155]// 00000000D1D4: D3F30098 1E627D96
	v_mfma_f32_16x16x32_fp8_fp8 v[172:175], a[152:153], a[56:57], v[172:175]// 00000000D1DC: D3F300AC 1EB27198
	v_mfma_f32_16x16x32_fp8_fp8 v[172:175], a[154:155], a[58:59], v[172:175]// 00000000D1E4: D3F300AC 1EB2759A
	v_mfma_f32_16x16x32_fp8_fp8 v[172:175], a[156:157], a[60:61], v[172:175]// 00000000D1EC: D3F300AC 1EB2799C
	v_mfma_f32_16x16x32_fp8_fp8 v[172:175], a[158:159], a[62:63], v[172:175]// 00000000D1F4: D3F300AC 1EB27D9E
	v_mfma_f32_16x16x32_fp8_fp8 v[192:195], a[160:161], a[56:57], v[192:195]// 00000000D1FC: D3F300C0 1F0271A0
	v_mfma_f32_16x16x32_fp8_fp8 v[192:195], a[162:163], a[58:59], v[192:195]// 00000000D204: D3F300C0 1F0275A2
	v_mfma_f32_16x16x32_fp8_fp8 v[192:195], a[164:165], a[60:61], v[192:195]// 00000000D20C: D3F300C0 1F0279A4
	v_mfma_f32_16x16x32_fp8_fp8 v[192:195], a[166:167], a[62:63], v[192:195]// 00000000D214: D3F300C0 1F027DA6
	v_mfma_f32_16x16x32_fp8_fp8 v[212:215], a[168:169], a[56:57], v[212:215]// 00000000D21C: D3F300D4 1F5271A8
	v_mfma_f32_16x16x32_fp8_fp8 v[212:215], a[170:171], a[58:59], v[212:215]// 00000000D224: D3F300D4 1F5275AA
	v_mfma_f32_16x16x32_fp8_fp8 v[212:215], a[172:173], a[60:61], v[212:215]// 00000000D22C: D3F300D4 1F5279AC
	v_mfma_f32_16x16x32_fp8_fp8 v[212:215], a[174:175], a[62:63], v[212:215]// 00000000D234: D3F300D4 1F527DAE
	v_mfma_f32_16x16x32_fp8_fp8 v[156:159], a[144:145], a[64:65], v[156:159]// 00000000D23C: D3F3009C 1E728190
	v_mfma_f32_16x16x32_fp8_fp8 v[156:159], a[146:147], a[66:67], v[156:159]// 00000000D244: D3F3009C 1E728592
	v_mfma_f32_16x16x32_fp8_fp8 v[156:159], a[148:149], a[68:69], v[156:159]// 00000000D24C: D3F3009C 1E728994
	v_mfma_f32_16x16x32_fp8_fp8 v[156:159], a[150:151], a[70:71], v[156:159]// 00000000D254: D3F3009C 1E728D96
	v_mfma_f32_16x16x32_fp8_fp8 v[176:179], a[152:153], a[64:65], v[176:179]// 00000000D25C: D3F300B0 1EC28198
	v_mfma_f32_16x16x32_fp8_fp8 v[176:179], a[154:155], a[66:67], v[176:179]// 00000000D264: D3F300B0 1EC2859A
	v_mfma_f32_16x16x32_fp8_fp8 v[176:179], a[156:157], a[68:69], v[176:179]// 00000000D26C: D3F300B0 1EC2899C
	v_mfma_f32_16x16x32_fp8_fp8 v[176:179], a[158:159], a[70:71], v[176:179]// 00000000D274: D3F300B0 1EC28D9E
	v_mfma_f32_16x16x32_fp8_fp8 v[196:199], a[160:161], a[64:65], v[196:199]// 00000000D27C: D3F300C4 1F1281A0
	v_mfma_f32_16x16x32_fp8_fp8 v[196:199], a[162:163], a[66:67], v[196:199]// 00000000D284: D3F300C4 1F1285A2
	v_mfma_f32_16x16x32_fp8_fp8 v[196:199], a[164:165], a[68:69], v[196:199]// 00000000D28C: D3F300C4 1F1289A4
	v_mfma_f32_16x16x32_fp8_fp8 v[196:199], a[166:167], a[70:71], v[196:199]// 00000000D294: D3F300C4 1F128DA6
	v_mfma_f32_16x16x32_fp8_fp8 v[216:219], a[168:169], a[64:65], v[216:219]// 00000000D29C: D3F300D8 1F6281A8
	v_mfma_f32_16x16x32_fp8_fp8 v[216:219], a[170:171], a[66:67], v[216:219]// 00000000D2A4: D3F300D8 1F6285AA
	v_mfma_f32_16x16x32_fp8_fp8 v[216:219], a[172:173], a[68:69], v[216:219]// 00000000D2AC: D3F300D8 1F6289AC
	v_mfma_f32_16x16x32_fp8_fp8 v[216:219], a[174:175], a[70:71], v[216:219]// 00000000D2B4: D3F300D8 1F628DAE
	v_mfma_f32_16x16x32_fp8_fp8 v[160:163], a[144:145], a[72:73], v[160:163]// 00000000D2BC: D3F300A0 1E829190
	v_mfma_f32_16x16x32_fp8_fp8 v[160:163], a[146:147], a[74:75], v[160:163]// 00000000D2C4: D3F300A0 1E829592
	v_mfma_f32_16x16x32_fp8_fp8 v[160:163], a[148:149], a[76:77], v[160:163]// 00000000D2CC: D3F300A0 1E829994
	v_mfma_f32_16x16x32_fp8_fp8 v[160:163], a[150:151], a[78:79], v[160:163]// 00000000D2D4: D3F300A0 1E829D96
	v_mfma_f32_16x16x32_fp8_fp8 v[180:183], a[152:153], a[72:73], v[180:183]// 00000000D2DC: D3F300B4 1ED29198
	v_mfma_f32_16x16x32_fp8_fp8 v[180:183], a[154:155], a[74:75], v[180:183]// 00000000D2E4: D3F300B4 1ED2959A
	v_mfma_f32_16x16x32_fp8_fp8 v[180:183], a[156:157], a[76:77], v[180:183]// 00000000D2EC: D3F300B4 1ED2999C
	v_mfma_f32_16x16x32_fp8_fp8 v[180:183], a[158:159], a[78:79], v[180:183]// 00000000D2F4: D3F300B4 1ED29D9E
	v_mfma_f32_16x16x32_fp8_fp8 v[200:203], a[160:161], a[72:73], v[200:203]// 00000000D2FC: D3F300C8 1F2291A0
	s_add_u32 s60, 0x180, s80                                  // 00000000D304: 803C50FF 00000180
	s_cmp_lt_u32 s60, s81                                      // 00000000D30C: BF0A513C
	s_cselect_b32 s57, s57, 0                                  // 00000000D310: 85398039
	v_mfma_f32_16x16x32_fp8_fp8 v[200:203], a[162:163], a[74:75], v[200:203]// 00000000D314: D3F300C8 1F2295A2
	s_add_u32 s60, 0x100, s80                                  // 00000000D31C: 803C50FF 00000100
	s_cmp_lt_u32 s60, s81                                      // 00000000D324: BF0A513C
	s_cselect_b32 s58, s58, 0                                  // 00000000D328: 853A803A
	v_mfma_f32_16x16x32_fp8_fp8 v[200:203], a[164:165], a[76:77], v[200:203]// 00000000D32C: D3F300C8 1F2299A4
	s_add_u32 s60, 0x100, s80                                  // 00000000D334: 803C50FF 00000100
	s_cmp_lt_u32 s60, s81                                      // 00000000D33C: BF0A513C
	s_cselect_b32 s83, s83, 0                                  // 00000000D340: 85538053
	v_mfma_f32_16x16x32_fp8_fp8 v[200:203], a[166:167], a[78:79], v[200:203]// 00000000D344: D3F300C8 1F229DA6
	s_add_u32 s24, s58, s24                                    // 00000000D34C: 8018183A
	s_addc_u32 s25, 0, s25                                     // 00000000D350: 82191980
	v_mfma_f32_16x16x32_fp8_fp8 v[220:223], a[168:169], a[72:73], v[220:223]// 00000000D354: D3F300DC 1F7291A8
	s_add_u32 s20, s57, s20                                    // 00000000D35C: 80141439
	s_addc_u32 s21, 0, s21                                     // 00000000D360: 82151580
	v_mfma_f32_16x16x32_fp8_fp8 v[220:223], a[170:171], a[74:75], v[220:223]// 00000000D364: D3F300DC 1F7295AA
	s_add_u32 s84, s83, s84                                    // 00000000D36C: 80545453
	s_addc_u32 s85, 0, s85                                     // 00000000D370: 82555580
	v_mfma_f32_16x16x32_fp8_fp8 v[220:223], a[172:173], a[76:77], v[220:223]// 00000000D374: D3F300DC 1F7299AC
	v_mfma_f32_16x16x32_fp8_fp8 v[220:223], a[174:175], a[78:79], v[220:223]// 00000000D37C: D3F300DC 1F729DAE
	s_addk_i32 s80, 0x80                                       // 00000000D384: B7500080
	s_cmp_lt_i32 s80, s81                                      // 00000000D388: BF045150
	s_cbranch_scc0 label_2A68                                  // 00000000D38C: BF840001
	s_branch label_2035                                        // 00000000D390: BF82F5CD

000000000000d394 <label_2A68>:
	v_mul_f32_dpp v64, v24, v64 row_newbcast:0 row_mask:0xf bank_mask:0xf// 00000000D394: 0A8080FA FF015018
	v_mul_f32_dpp v65, v24, v65 row_newbcast:1 row_mask:0xf bank_mask:0xf// 00000000D39C: 0A8282FA FF015118
	v_mul_f32_dpp v66, v24, v66 row_newbcast:2 row_mask:0xf bank_mask:0xf// 00000000D3A4: 0A8484FA FF015218
	v_mul_f32_dpp v67, v24, v67 row_newbcast:3 row_mask:0xf bank_mask:0xf// 00000000D3AC: 0A8686FA FF015318
	v_mul_f32_dpp v68, v24, v68 row_newbcast:0 row_mask:0xf bank_mask:0xf// 00000000D3B4: 0A8888FA FF015018
	v_mul_f32_dpp v69, v24, v69 row_newbcast:1 row_mask:0xf bank_mask:0xf// 00000000D3BC: 0A8A8AFA FF015118
	v_mul_f32_dpp v70, v24, v70 row_newbcast:2 row_mask:0xf bank_mask:0xf// 00000000D3C4: 0A8C8CFA FF015218
	v_mul_f32_dpp v71, v24, v71 row_newbcast:3 row_mask:0xf bank_mask:0xf// 00000000D3CC: 0A8E8EFA FF015318
	v_mul_f32_dpp v72, v24, v72 row_newbcast:0 row_mask:0xf bank_mask:0xf// 00000000D3D4: 0A9090FA FF015018
	v_mul_f32_dpp v73, v24, v73 row_newbcast:1 row_mask:0xf bank_mask:0xf// 00000000D3DC: 0A9292FA FF015118
	v_mul_f32_dpp v74, v24, v74 row_newbcast:2 row_mask:0xf bank_mask:0xf// 00000000D3E4: 0A9494FA FF015218
	v_mul_f32_dpp v75, v24, v75 row_newbcast:3 row_mask:0xf bank_mask:0xf// 00000000D3EC: 0A9696FA FF015318
	v_mul_f32_dpp v76, v24, v76 row_newbcast:0 row_mask:0xf bank_mask:0xf// 00000000D3F4: 0A9898FA FF015018
	v_mul_f32_dpp v77, v24, v77 row_newbcast:1 row_mask:0xf bank_mask:0xf// 00000000D3FC: 0A9A9AFA FF015118
	v_mul_f32_dpp v78, v24, v78 row_newbcast:2 row_mask:0xf bank_mask:0xf// 00000000D404: 0A9C9CFA FF015218
	v_mul_f32_dpp v79, v24, v79 row_newbcast:3 row_mask:0xf bank_mask:0xf// 00000000D40C: 0A9E9EFA FF015318
	v_mul_f32_dpp v80, v24, v80 row_newbcast:0 row_mask:0xf bank_mask:0xf// 00000000D414: 0AA0A0FA FF015018
	v_mul_f32_dpp v81, v24, v81 row_newbcast:1 row_mask:0xf bank_mask:0xf// 00000000D41C: 0AA2A2FA FF015118
	v_mul_f32_dpp v82, v24, v82 row_newbcast:2 row_mask:0xf bank_mask:0xf// 00000000D424: 0AA4A4FA FF015218
	v_mul_f32_dpp v83, v24, v83 row_newbcast:3 row_mask:0xf bank_mask:0xf// 00000000D42C: 0AA6A6FA FF015318
	v_mul_f32_dpp v84, v24, v84 row_newbcast:4 row_mask:0xf bank_mask:0xf// 00000000D434: 0AA8A8FA FF015418
	v_mul_f32_dpp v85, v24, v85 row_newbcast:5 row_mask:0xf bank_mask:0xf// 00000000D43C: 0AAAAAFA FF015518
	v_mul_f32_dpp v86, v24, v86 row_newbcast:6 row_mask:0xf bank_mask:0xf// 00000000D444: 0AACACFA FF015618
	v_mul_f32_dpp v87, v24, v87 row_newbcast:7 row_mask:0xf bank_mask:0xf// 00000000D44C: 0AAEAEFA FF015718
	v_mul_f32_dpp v88, v24, v88 row_newbcast:4 row_mask:0xf bank_mask:0xf// 00000000D454: 0AB0B0FA FF015418
	v_mul_f32_dpp v89, v24, v89 row_newbcast:5 row_mask:0xf bank_mask:0xf// 00000000D45C: 0AB2B2FA FF015518
	v_mul_f32_dpp v90, v24, v90 row_newbcast:6 row_mask:0xf bank_mask:0xf// 00000000D464: 0AB4B4FA FF015618
	v_mul_f32_dpp v91, v24, v91 row_newbcast:7 row_mask:0xf bank_mask:0xf// 00000000D46C: 0AB6B6FA FF015718
	v_mul_f32_dpp v92, v24, v92 row_newbcast:4 row_mask:0xf bank_mask:0xf// 00000000D474: 0AB8B8FA FF015418
	v_mul_f32_dpp v93, v24, v93 row_newbcast:5 row_mask:0xf bank_mask:0xf// 00000000D47C: 0ABABAFA FF015518
	v_mul_f32_dpp v94, v24, v94 row_newbcast:6 row_mask:0xf bank_mask:0xf// 00000000D484: 0ABCBCFA FF015618
	v_mul_f32_dpp v95, v24, v95 row_newbcast:7 row_mask:0xf bank_mask:0xf// 00000000D48C: 0ABEBEFA FF015718
	v_mul_f32_dpp v96, v24, v96 row_newbcast:4 row_mask:0xf bank_mask:0xf// 00000000D494: 0AC0C0FA FF015418
	v_mul_f32_dpp v97, v24, v97 row_newbcast:5 row_mask:0xf bank_mask:0xf// 00000000D49C: 0AC2C2FA FF015518
	v_mul_f32_dpp v98, v24, v98 row_newbcast:6 row_mask:0xf bank_mask:0xf// 00000000D4A4: 0AC4C4FA FF015618
	v_mul_f32_dpp v99, v24, v99 row_newbcast:7 row_mask:0xf bank_mask:0xf// 00000000D4AC: 0AC6C6FA FF015718
	v_mul_f32_dpp v100, v24, v100 row_newbcast:4 row_mask:0xf bank_mask:0xf// 00000000D4B4: 0AC8C8FA FF015418
	v_mul_f32_dpp v101, v24, v101 row_newbcast:5 row_mask:0xf bank_mask:0xf// 00000000D4BC: 0ACACAFA FF015518
	v_mul_f32_dpp v102, v24, v102 row_newbcast:6 row_mask:0xf bank_mask:0xf// 00000000D4C4: 0ACCCCFA FF015618
	v_mul_f32_dpp v103, v24, v103 row_newbcast:7 row_mask:0xf bank_mask:0xf// 00000000D4CC: 0ACECEFA FF015718
	v_mul_f32_dpp v104, v24, v104 row_newbcast:8 row_mask:0xf bank_mask:0xf// 00000000D4D4: 0AD0D0FA FF015818
	v_mul_f32_dpp v105, v24, v105 row_newbcast:9 row_mask:0xf bank_mask:0xf// 00000000D4DC: 0AD2D2FA FF015918
	v_mul_f32_dpp v106, v24, v106 row_newbcast:10 row_mask:0xf bank_mask:0xf// 00000000D4E4: 0AD4D4FA FF015A18
	v_mul_f32_dpp v107, v24, v107 row_newbcast:11 row_mask:0xf bank_mask:0xf// 00000000D4EC: 0AD6D6FA FF015B18
	v_mul_f32_dpp v108, v24, v108 row_newbcast:8 row_mask:0xf bank_mask:0xf// 00000000D4F4: 0AD8D8FA FF015818
	v_mul_f32_dpp v109, v24, v109 row_newbcast:9 row_mask:0xf bank_mask:0xf// 00000000D4FC: 0ADADAFA FF015918
	v_mul_f32_dpp v110, v24, v110 row_newbcast:10 row_mask:0xf bank_mask:0xf// 00000000D504: 0ADCDCFA FF015A18
	v_mul_f32_dpp v111, v24, v111 row_newbcast:11 row_mask:0xf bank_mask:0xf// 00000000D50C: 0ADEDEFA FF015B18
	v_mul_f32_dpp v112, v24, v112 row_newbcast:8 row_mask:0xf bank_mask:0xf// 00000000D514: 0AE0E0FA FF015818
	v_mul_f32_dpp v113, v24, v113 row_newbcast:9 row_mask:0xf bank_mask:0xf// 00000000D51C: 0AE2E2FA FF015918
	v_mul_f32_dpp v114, v24, v114 row_newbcast:10 row_mask:0xf bank_mask:0xf// 00000000D524: 0AE4E4FA FF015A18
	v_mul_f32_dpp v115, v24, v115 row_newbcast:11 row_mask:0xf bank_mask:0xf// 00000000D52C: 0AE6E6FA FF015B18
	v_mul_f32_dpp v116, v24, v116 row_newbcast:8 row_mask:0xf bank_mask:0xf// 00000000D534: 0AE8E8FA FF015818
	v_mul_f32_dpp v117, v24, v117 row_newbcast:9 row_mask:0xf bank_mask:0xf// 00000000D53C: 0AEAEAFA FF015918
	v_mul_f32_dpp v118, v24, v118 row_newbcast:10 row_mask:0xf bank_mask:0xf// 00000000D544: 0AECECFA FF015A18
	v_mul_f32_dpp v119, v24, v119 row_newbcast:11 row_mask:0xf bank_mask:0xf// 00000000D54C: 0AEEEEFA FF015B18
	v_mul_f32_dpp v120, v24, v120 row_newbcast:8 row_mask:0xf bank_mask:0xf// 00000000D554: 0AF0F0FA FF015818
	v_mul_f32_dpp v121, v24, v121 row_newbcast:9 row_mask:0xf bank_mask:0xf// 00000000D55C: 0AF2F2FA FF015918
	v_mul_f32_dpp v122, v24, v122 row_newbcast:10 row_mask:0xf bank_mask:0xf// 00000000D564: 0AF4F4FA FF015A18
	v_mul_f32_dpp v123, v24, v123 row_newbcast:11 row_mask:0xf bank_mask:0xf// 00000000D56C: 0AF6F6FA FF015B18
	v_mul_f32_dpp v124, v24, v124 row_newbcast:12 row_mask:0xf bank_mask:0xf// 00000000D574: 0AF8F8FA FF015C18
	v_mul_f32_dpp v125, v24, v125 row_newbcast:13 row_mask:0xf bank_mask:0xf// 00000000D57C: 0AFAFAFA FF015D18
	v_mul_f32_dpp v126, v24, v126 row_newbcast:14 row_mask:0xf bank_mask:0xf// 00000000D584: 0AFCFCFA FF015E18
	v_mul_f32_dpp v127, v24, v127 row_newbcast:15 row_mask:0xf bank_mask:0xf// 00000000D58C: 0AFEFEFA FF015F18
	v_mul_f32_dpp v128, v24, v128 row_newbcast:12 row_mask:0xf bank_mask:0xf// 00000000D594: 0B0100FA FF015C18
	v_mul_f32_dpp v129, v24, v129 row_newbcast:13 row_mask:0xf bank_mask:0xf// 00000000D59C: 0B0302FA FF015D18
	v_mul_f32_dpp v130, v24, v130 row_newbcast:14 row_mask:0xf bank_mask:0xf// 00000000D5A4: 0B0504FA FF015E18
	v_mul_f32_dpp v131, v24, v131 row_newbcast:15 row_mask:0xf bank_mask:0xf// 00000000D5AC: 0B0706FA FF015F18
	v_mul_f32_dpp v132, v24, v132 row_newbcast:12 row_mask:0xf bank_mask:0xf// 00000000D5B4: 0B0908FA FF015C18
	v_mul_f32_dpp v133, v24, v133 row_newbcast:13 row_mask:0xf bank_mask:0xf// 00000000D5BC: 0B0B0AFA FF015D18
	v_mul_f32_dpp v134, v24, v134 row_newbcast:14 row_mask:0xf bank_mask:0xf// 00000000D5C4: 0B0D0CFA FF015E18
	v_mul_f32_dpp v135, v24, v135 row_newbcast:15 row_mask:0xf bank_mask:0xf// 00000000D5CC: 0B0F0EFA FF015F18
	v_mul_f32_dpp v136, v24, v136 row_newbcast:12 row_mask:0xf bank_mask:0xf// 00000000D5D4: 0B1110FA FF015C18
	v_mul_f32_dpp v137, v24, v137 row_newbcast:13 row_mask:0xf bank_mask:0xf// 00000000D5DC: 0B1312FA FF015D18
	v_mul_f32_dpp v138, v24, v138 row_newbcast:14 row_mask:0xf bank_mask:0xf// 00000000D5E4: 0B1514FA FF015E18
	v_mul_f32_dpp v139, v24, v139 row_newbcast:15 row_mask:0xf bank_mask:0xf// 00000000D5EC: 0B1716FA FF015F18
	v_mul_f32_dpp v140, v24, v140 row_newbcast:12 row_mask:0xf bank_mask:0xf// 00000000D5F4: 0B1918FA FF015C18
	v_mul_f32_dpp v141, v24, v141 row_newbcast:13 row_mask:0xf bank_mask:0xf// 00000000D5FC: 0B1B1AFA FF015D18
	v_mul_f32_dpp v142, v24, v142 row_newbcast:14 row_mask:0xf bank_mask:0xf// 00000000D604: 0B1D1CFA FF015E18
	v_mul_f32_dpp v143, v24, v143 row_newbcast:15 row_mask:0xf bank_mask:0xf// 00000000D60C: 0B1F1EFA FF015F18
	v_mul_f32_dpp v144, v27, v144 row_newbcast:0 row_mask:0xf bank_mask:0xf// 00000000D614: 0B2120FA FF01501B
	v_mul_f32_dpp v145, v27, v145 row_newbcast:1 row_mask:0xf bank_mask:0xf// 00000000D61C: 0B2322FA FF01511B
	v_mul_f32_dpp v146, v27, v146 row_newbcast:2 row_mask:0xf bank_mask:0xf// 00000000D624: 0B2524FA FF01521B
	v_mul_f32_dpp v147, v27, v147 row_newbcast:3 row_mask:0xf bank_mask:0xf// 00000000D62C: 0B2726FA FF01531B
	v_mul_f32_dpp v148, v27, v148 row_newbcast:0 row_mask:0xf bank_mask:0xf// 00000000D634: 0B2928FA FF01501B
	v_mul_f32_dpp v149, v27, v149 row_newbcast:1 row_mask:0xf bank_mask:0xf// 00000000D63C: 0B2B2AFA FF01511B
	v_mul_f32_dpp v150, v27, v150 row_newbcast:2 row_mask:0xf bank_mask:0xf// 00000000D644: 0B2D2CFA FF01521B
	v_mul_f32_dpp v151, v27, v151 row_newbcast:3 row_mask:0xf bank_mask:0xf// 00000000D64C: 0B2F2EFA FF01531B
	v_mul_f32_dpp v152, v27, v152 row_newbcast:0 row_mask:0xf bank_mask:0xf// 00000000D654: 0B3130FA FF01501B
	v_mul_f32_dpp v153, v27, v153 row_newbcast:1 row_mask:0xf bank_mask:0xf// 00000000D65C: 0B3332FA FF01511B
	v_mul_f32_dpp v154, v27, v154 row_newbcast:2 row_mask:0xf bank_mask:0xf// 00000000D664: 0B3534FA FF01521B
	v_mul_f32_dpp v155, v27, v155 row_newbcast:3 row_mask:0xf bank_mask:0xf// 00000000D66C: 0B3736FA FF01531B
	v_mul_f32_dpp v156, v27, v156 row_newbcast:0 row_mask:0xf bank_mask:0xf// 00000000D674: 0B3938FA FF01501B
	v_mul_f32_dpp v157, v27, v157 row_newbcast:1 row_mask:0xf bank_mask:0xf// 00000000D67C: 0B3B3AFA FF01511B
	v_mul_f32_dpp v158, v27, v158 row_newbcast:2 row_mask:0xf bank_mask:0xf// 00000000D684: 0B3D3CFA FF01521B
	v_mul_f32_dpp v159, v27, v159 row_newbcast:3 row_mask:0xf bank_mask:0xf// 00000000D68C: 0B3F3EFA FF01531B
	v_mul_f32_dpp v160, v27, v160 row_newbcast:0 row_mask:0xf bank_mask:0xf// 00000000D694: 0B4140FA FF01501B
	v_mul_f32_dpp v161, v27, v161 row_newbcast:1 row_mask:0xf bank_mask:0xf// 00000000D69C: 0B4342FA FF01511B
	v_mul_f32_dpp v162, v27, v162 row_newbcast:2 row_mask:0xf bank_mask:0xf// 00000000D6A4: 0B4544FA FF01521B
	v_mul_f32_dpp v163, v27, v163 row_newbcast:3 row_mask:0xf bank_mask:0xf// 00000000D6AC: 0B4746FA FF01531B
	v_mul_f32_dpp v164, v27, v164 row_newbcast:4 row_mask:0xf bank_mask:0xf// 00000000D6B4: 0B4948FA FF01541B
	v_mul_f32_dpp v165, v27, v165 row_newbcast:5 row_mask:0xf bank_mask:0xf// 00000000D6BC: 0B4B4AFA FF01551B
	v_mul_f32_dpp v166, v27, v166 row_newbcast:6 row_mask:0xf bank_mask:0xf// 00000000D6C4: 0B4D4CFA FF01561B
	v_mul_f32_dpp v167, v27, v167 row_newbcast:7 row_mask:0xf bank_mask:0xf// 00000000D6CC: 0B4F4EFA FF01571B
	v_mul_f32_dpp v168, v27, v168 row_newbcast:4 row_mask:0xf bank_mask:0xf// 00000000D6D4: 0B5150FA FF01541B
	v_mul_f32_dpp v169, v27, v169 row_newbcast:5 row_mask:0xf bank_mask:0xf// 00000000D6DC: 0B5352FA FF01551B
	v_mul_f32_dpp v170, v27, v170 row_newbcast:6 row_mask:0xf bank_mask:0xf// 00000000D6E4: 0B5554FA FF01561B
	v_mul_f32_dpp v171, v27, v171 row_newbcast:7 row_mask:0xf bank_mask:0xf// 00000000D6EC: 0B5756FA FF01571B
	v_mul_f32_dpp v172, v27, v172 row_newbcast:4 row_mask:0xf bank_mask:0xf// 00000000D6F4: 0B5958FA FF01541B
	v_mul_f32_dpp v173, v27, v173 row_newbcast:5 row_mask:0xf bank_mask:0xf// 00000000D6FC: 0B5B5AFA FF01551B
	v_mul_f32_dpp v174, v27, v174 row_newbcast:6 row_mask:0xf bank_mask:0xf// 00000000D704: 0B5D5CFA FF01561B
	v_mul_f32_dpp v175, v27, v175 row_newbcast:7 row_mask:0xf bank_mask:0xf// 00000000D70C: 0B5F5EFA FF01571B
	v_mul_f32_dpp v176, v27, v176 row_newbcast:4 row_mask:0xf bank_mask:0xf// 00000000D714: 0B6160FA FF01541B
	v_mul_f32_dpp v177, v27, v177 row_newbcast:5 row_mask:0xf bank_mask:0xf// 00000000D71C: 0B6362FA FF01551B
	v_mul_f32_dpp v178, v27, v178 row_newbcast:6 row_mask:0xf bank_mask:0xf// 00000000D724: 0B6564FA FF01561B
	v_mul_f32_dpp v179, v27, v179 row_newbcast:7 row_mask:0xf bank_mask:0xf// 00000000D72C: 0B6766FA FF01571B
	v_mul_f32_dpp v180, v27, v180 row_newbcast:4 row_mask:0xf bank_mask:0xf// 00000000D734: 0B6968FA FF01541B
	v_mul_f32_dpp v181, v27, v181 row_newbcast:5 row_mask:0xf bank_mask:0xf// 00000000D73C: 0B6B6AFA FF01551B
	v_mul_f32_dpp v182, v27, v182 row_newbcast:6 row_mask:0xf bank_mask:0xf// 00000000D744: 0B6D6CFA FF01561B
	v_mul_f32_dpp v183, v27, v183 row_newbcast:7 row_mask:0xf bank_mask:0xf// 00000000D74C: 0B6F6EFA FF01571B
	v_mul_f32_dpp v184, v27, v184 row_newbcast:8 row_mask:0xf bank_mask:0xf// 00000000D754: 0B7170FA FF01581B
	v_mul_f32_dpp v185, v27, v185 row_newbcast:9 row_mask:0xf bank_mask:0xf// 00000000D75C: 0B7372FA FF01591B
	v_mul_f32_dpp v186, v27, v186 row_newbcast:10 row_mask:0xf bank_mask:0xf// 00000000D764: 0B7574FA FF015A1B
	v_mul_f32_dpp v187, v27, v187 row_newbcast:11 row_mask:0xf bank_mask:0xf// 00000000D76C: 0B7776FA FF015B1B
	v_mul_f32_dpp v188, v27, v188 row_newbcast:8 row_mask:0xf bank_mask:0xf// 00000000D774: 0B7978FA FF01581B
	v_mul_f32_dpp v189, v27, v189 row_newbcast:9 row_mask:0xf bank_mask:0xf// 00000000D77C: 0B7B7AFA FF01591B
	v_mul_f32_dpp v190, v27, v190 row_newbcast:10 row_mask:0xf bank_mask:0xf// 00000000D784: 0B7D7CFA FF015A1B
	v_mul_f32_dpp v191, v27, v191 row_newbcast:11 row_mask:0xf bank_mask:0xf// 00000000D78C: 0B7F7EFA FF015B1B
	v_mul_f32_dpp v192, v27, v192 row_newbcast:8 row_mask:0xf bank_mask:0xf// 00000000D794: 0B8180FA FF01581B
	v_mul_f32_dpp v193, v27, v193 row_newbcast:9 row_mask:0xf bank_mask:0xf// 00000000D79C: 0B8382FA FF01591B
	v_mul_f32_dpp v194, v27, v194 row_newbcast:10 row_mask:0xf bank_mask:0xf// 00000000D7A4: 0B8584FA FF015A1B
	v_mul_f32_dpp v195, v27, v195 row_newbcast:11 row_mask:0xf bank_mask:0xf// 00000000D7AC: 0B8786FA FF015B1B
	v_mul_f32_dpp v196, v27, v196 row_newbcast:8 row_mask:0xf bank_mask:0xf// 00000000D7B4: 0B8988FA FF01581B
	v_mul_f32_dpp v197, v27, v197 row_newbcast:9 row_mask:0xf bank_mask:0xf// 00000000D7BC: 0B8B8AFA FF01591B
	v_mul_f32_dpp v198, v27, v198 row_newbcast:10 row_mask:0xf bank_mask:0xf// 00000000D7C4: 0B8D8CFA FF015A1B
	v_mul_f32_dpp v199, v27, v199 row_newbcast:11 row_mask:0xf bank_mask:0xf// 00000000D7CC: 0B8F8EFA FF015B1B
	v_mul_f32_dpp v200, v27, v200 row_newbcast:8 row_mask:0xf bank_mask:0xf// 00000000D7D4: 0B9190FA FF01581B
	v_mul_f32_dpp v201, v27, v201 row_newbcast:9 row_mask:0xf bank_mask:0xf// 00000000D7DC: 0B9392FA FF01591B
	v_mul_f32_dpp v202, v27, v202 row_newbcast:10 row_mask:0xf bank_mask:0xf// 00000000D7E4: 0B9594FA FF015A1B
	v_mul_f32_dpp v203, v27, v203 row_newbcast:11 row_mask:0xf bank_mask:0xf// 00000000D7EC: 0B9796FA FF015B1B
	v_mul_f32_dpp v204, v27, v204 row_newbcast:12 row_mask:0xf bank_mask:0xf// 00000000D7F4: 0B9998FA FF015C1B
	v_mul_f32_dpp v205, v27, v205 row_newbcast:13 row_mask:0xf bank_mask:0xf// 00000000D7FC: 0B9B9AFA FF015D1B
	v_mul_f32_dpp v206, v27, v206 row_newbcast:14 row_mask:0xf bank_mask:0xf// 00000000D804: 0B9D9CFA FF015E1B
	v_mul_f32_dpp v207, v27, v207 row_newbcast:15 row_mask:0xf bank_mask:0xf// 00000000D80C: 0B9F9EFA FF015F1B
	v_mul_f32_dpp v208, v27, v208 row_newbcast:12 row_mask:0xf bank_mask:0xf// 00000000D814: 0BA1A0FA FF015C1B
	v_mul_f32_dpp v209, v27, v209 row_newbcast:13 row_mask:0xf bank_mask:0xf// 00000000D81C: 0BA3A2FA FF015D1B
	v_mul_f32_dpp v210, v27, v210 row_newbcast:14 row_mask:0xf bank_mask:0xf// 00000000D824: 0BA5A4FA FF015E1B
	v_mul_f32_dpp v211, v27, v211 row_newbcast:15 row_mask:0xf bank_mask:0xf// 00000000D82C: 0BA7A6FA FF015F1B
	v_mul_f32_dpp v212, v27, v212 row_newbcast:12 row_mask:0xf bank_mask:0xf// 00000000D834: 0BA9A8FA FF015C1B
	v_mul_f32_dpp v213, v27, v213 row_newbcast:13 row_mask:0xf bank_mask:0xf// 00000000D83C: 0BABAAFA FF015D1B
	v_mul_f32_dpp v214, v27, v214 row_newbcast:14 row_mask:0xf bank_mask:0xf// 00000000D844: 0BADACFA FF015E1B
	v_mul_f32_dpp v215, v27, v215 row_newbcast:15 row_mask:0xf bank_mask:0xf// 00000000D84C: 0BAFAEFA FF015F1B
	v_mul_f32_dpp v216, v27, v216 row_newbcast:12 row_mask:0xf bank_mask:0xf// 00000000D854: 0BB1B0FA FF015C1B
	v_mul_f32_dpp v217, v27, v217 row_newbcast:13 row_mask:0xf bank_mask:0xf// 00000000D85C: 0BB3B2FA FF015D1B
	v_mul_f32_dpp v218, v27, v218 row_newbcast:14 row_mask:0xf bank_mask:0xf// 00000000D864: 0BB5B4FA FF015E1B
	v_mul_f32_dpp v219, v27, v219 row_newbcast:15 row_mask:0xf bank_mask:0xf// 00000000D86C: 0BB7B6FA FF015F1B
	v_mul_f32_dpp v220, v27, v220 row_newbcast:12 row_mask:0xf bank_mask:0xf// 00000000D874: 0BB9B8FA FF015C1B
	v_mul_f32_dpp v221, v27, v221 row_newbcast:13 row_mask:0xf bank_mask:0xf// 00000000D87C: 0BBBBAFA FF015D1B
	v_mul_f32_dpp v222, v27, v222 row_newbcast:14 row_mask:0xf bank_mask:0xf// 00000000D884: 0BBDBCFA FF015E1B
	v_mul_f32_dpp v223, v27, v223 row_newbcast:15 row_mask:0xf bank_mask:0xf// 00000000D88C: 0BBFBEFA FF015F1B
	v_mul_f32_e32 v35, v35, v224                               // 00000000D894: 0A47C123
	v_mov_b32_e32 v4, v35                                      // 00000000D898: 7E080323
	v_mov_b32_e32 v5, v4                                       // 00000000D89C: 7E0A0304
	v_pk_mul_f32 v[64:65], v[4:5], v[64:65]                    // 00000000D8A0: D3B14040 18028104
	v_pk_mul_f32 v[144:145], v[4:5], v[144:145]                // 00000000D8A8: D3B14090 18032104
	v_pk_mul_f32 v[66:67], v[4:5], v[66:67]                    // 00000000D8B0: D3B14042 18028504
	v_pk_mul_f32 v[146:147], v[4:5], v[146:147]                // 00000000D8B8: D3B14092 18032504
	v_pk_mul_f32 v[84:85], v[4:5], v[84:85]                    // 00000000D8C0: D3B14054 1802A904
	v_pk_mul_f32 v[164:165], v[4:5], v[164:165]                // 00000000D8C8: D3B140A4 18034904
	v_pk_mul_f32 v[86:87], v[4:5], v[86:87]                    // 00000000D8D0: D3B14056 1802AD04
	v_pk_mul_f32 v[166:167], v[4:5], v[166:167]                // 00000000D8D8: D3B140A6 18034D04
	v_pk_mul_f32 v[104:105], v[4:5], v[104:105]                // 00000000D8E0: D3B14068 1802D104
	v_pk_mul_f32 v[184:185], v[4:5], v[184:185]                // 00000000D8E8: D3B140B8 18037104
	v_pk_mul_f32 v[106:107], v[4:5], v[106:107]                // 00000000D8F0: D3B1406A 1802D504
	v_pk_mul_f32 v[186:187], v[4:5], v[186:187]                // 00000000D8F8: D3B140BA 18037504
	v_pk_mul_f32 v[124:125], v[4:5], v[124:125]                // 00000000D900: D3B1407C 1802F904
	v_pk_mul_f32 v[204:205], v[4:5], v[204:205]                // 00000000D908: D3B140CC 18039904
	v_pk_mul_f32 v[126:127], v[4:5], v[126:127]                // 00000000D910: D3B1407E 1802FD04
	v_pk_mul_f32 v[206:207], v[4:5], v[206:207]                // 00000000D918: D3B140CE 18039D04
	v_mul_f32_e32 v36, v36, v225                               // 00000000D920: 0A49C324
	v_mov_b32_e32 v4, v36                                      // 00000000D924: 7E080324
	v_mov_b32_e32 v5, v4                                       // 00000000D928: 7E0A0304
	v_pk_mul_f32 v[68:69], v[4:5], v[68:69]                    // 00000000D92C: D3B14044 18028904
	v_pk_mul_f32 v[148:149], v[4:5], v[148:149]                // 00000000D934: D3B14094 18032904
	v_pk_mul_f32 v[70:71], v[4:5], v[70:71]                    // 00000000D93C: D3B14046 18028D04
	v_pk_mul_f32 v[150:151], v[4:5], v[150:151]                // 00000000D944: D3B14096 18032D04
	v_pk_mul_f32 v[88:89], v[4:5], v[88:89]                    // 00000000D94C: D3B14058 1802B104
	v_pk_mul_f32 v[168:169], v[4:5], v[168:169]                // 00000000D954: D3B140A8 18035104
	v_pk_mul_f32 v[90:91], v[4:5], v[90:91]                    // 00000000D95C: D3B1405A 1802B504
	v_pk_mul_f32 v[170:171], v[4:5], v[170:171]                // 00000000D964: D3B140AA 18035504
	v_pk_mul_f32 v[108:109], v[4:5], v[108:109]                // 00000000D96C: D3B1406C 1802D904
	v_pk_mul_f32 v[188:189], v[4:5], v[188:189]                // 00000000D974: D3B140BC 18037904
	v_pk_mul_f32 v[110:111], v[4:5], v[110:111]                // 00000000D97C: D3B1406E 1802DD04
	v_pk_mul_f32 v[190:191], v[4:5], v[190:191]                // 00000000D984: D3B140BE 18037D04
	v_pk_mul_f32 v[128:129], v[4:5], v[128:129]                // 00000000D98C: D3B14080 18030104
	v_pk_mul_f32 v[208:209], v[4:5], v[208:209]                // 00000000D994: D3B140D0 1803A104
	v_pk_mul_f32 v[130:131], v[4:5], v[130:131]                // 00000000D99C: D3B14082 18030504
	v_pk_mul_f32 v[210:211], v[4:5], v[210:211]                // 00000000D9A4: D3B140D2 1803A504
	v_mul_f32_e32 v37, v37, v226                               // 00000000D9AC: 0A4BC525
	v_mov_b32_e32 v4, v37                                      // 00000000D9B0: 7E080325
	v_mov_b32_e32 v5, v4                                       // 00000000D9B4: 7E0A0304
	v_pk_mul_f32 v[72:73], v[4:5], v[72:73]                    // 00000000D9B8: D3B14048 18029104
	v_pk_mul_f32 v[152:153], v[4:5], v[152:153]                // 00000000D9C0: D3B14098 18033104
	v_pk_mul_f32 v[74:75], v[4:5], v[74:75]                    // 00000000D9C8: D3B1404A 18029504
	v_pk_mul_f32 v[154:155], v[4:5], v[154:155]                // 00000000D9D0: D3B1409A 18033504
	v_pk_mul_f32 v[92:93], v[4:5], v[92:93]                    // 00000000D9D8: D3B1405C 1802B904
	v_pk_mul_f32 v[172:173], v[4:5], v[172:173]                // 00000000D9E0: D3B140AC 18035904
	v_pk_mul_f32 v[94:95], v[4:5], v[94:95]                    // 00000000D9E8: D3B1405E 1802BD04
	v_pk_mul_f32 v[174:175], v[4:5], v[174:175]                // 00000000D9F0: D3B140AE 18035D04
	v_pk_mul_f32 v[112:113], v[4:5], v[112:113]                // 00000000D9F8: D3B14070 1802E104
	v_pk_mul_f32 v[192:193], v[4:5], v[192:193]                // 00000000DA00: D3B140C0 18038104
	v_pk_mul_f32 v[114:115], v[4:5], v[114:115]                // 00000000DA08: D3B14072 1802E504
	v_pk_mul_f32 v[194:195], v[4:5], v[194:195]                // 00000000DA10: D3B140C2 18038504
	v_pk_mul_f32 v[132:133], v[4:5], v[132:133]                // 00000000DA18: D3B14084 18030904
	v_pk_mul_f32 v[212:213], v[4:5], v[212:213]                // 00000000DA20: D3B140D4 1803A904
	v_pk_mul_f32 v[134:135], v[4:5], v[134:135]                // 00000000DA28: D3B14086 18030D04
	v_pk_mul_f32 v[214:215], v[4:5], v[214:215]                // 00000000DA30: D3B140D6 1803AD04
	v_mul_f32_e32 v38, v38, v227                               // 00000000DA38: 0A4DC726
	v_mov_b32_e32 v4, v38                                      // 00000000DA3C: 7E080326
	v_mov_b32_e32 v5, v4                                       // 00000000DA40: 7E0A0304
	v_pk_mul_f32 v[76:77], v[4:5], v[76:77]                    // 00000000DA44: D3B1404C 18029904
	v_pk_mul_f32 v[156:157], v[4:5], v[156:157]                // 00000000DA4C: D3B1409C 18033904
	v_pk_mul_f32 v[78:79], v[4:5], v[78:79]                    // 00000000DA54: D3B1404E 18029D04
	v_pk_mul_f32 v[158:159], v[4:5], v[158:159]                // 00000000DA5C: D3B1409E 18033D04
	v_pk_mul_f32 v[96:97], v[4:5], v[96:97]                    // 00000000DA64: D3B14060 1802C104
	v_pk_mul_f32 v[176:177], v[4:5], v[176:177]                // 00000000DA6C: D3B140B0 18036104
	v_pk_mul_f32 v[98:99], v[4:5], v[98:99]                    // 00000000DA74: D3B14062 1802C504
	v_pk_mul_f32 v[178:179], v[4:5], v[178:179]                // 00000000DA7C: D3B140B2 18036504
	v_pk_mul_f32 v[116:117], v[4:5], v[116:117]                // 00000000DA84: D3B14074 1802E904
	v_pk_mul_f32 v[196:197], v[4:5], v[196:197]                // 00000000DA8C: D3B140C4 18038904
	v_pk_mul_f32 v[118:119], v[4:5], v[118:119]                // 00000000DA94: D3B14076 1802ED04
	v_pk_mul_f32 v[198:199], v[4:5], v[198:199]                // 00000000DA9C: D3B140C6 18038D04
	v_pk_mul_f32 v[136:137], v[4:5], v[136:137]                // 00000000DAA4: D3B14088 18031104
	v_pk_mul_f32 v[216:217], v[4:5], v[216:217]                // 00000000DAAC: D3B140D8 1803B104
	v_pk_mul_f32 v[138:139], v[4:5], v[138:139]                // 00000000DAB4: D3B1408A 18031504
	v_pk_mul_f32 v[218:219], v[4:5], v[218:219]                // 00000000DABC: D3B140DA 1803B504
	v_mul_f32_e32 v39, v39, v228                               // 00000000DAC4: 0A4FC927
	v_mov_b32_e32 v4, v39                                      // 00000000DAC8: 7E080327
	v_mov_b32_e32 v5, v4                                       // 00000000DACC: 7E0A0304
	v_pk_mul_f32 v[80:81], v[4:5], v[80:81]                    // 00000000DAD0: D3B14050 1802A104
	v_pk_mul_f32 v[160:161], v[4:5], v[160:161]                // 00000000DAD8: D3B140A0 18034104
	v_pk_mul_f32 v[82:83], v[4:5], v[82:83]                    // 00000000DAE0: D3B14052 1802A504
	v_pk_mul_f32 v[162:163], v[4:5], v[162:163]                // 00000000DAE8: D3B140A2 18034504
	v_pk_mul_f32 v[100:101], v[4:5], v[100:101]                // 00000000DAF0: D3B14064 1802C904
	v_pk_mul_f32 v[180:181], v[4:5], v[180:181]                // 00000000DAF8: D3B140B4 18036904
	v_pk_mul_f32 v[102:103], v[4:5], v[102:103]                // 00000000DB00: D3B14066 1802CD04
	v_pk_mul_f32 v[182:183], v[4:5], v[182:183]                // 00000000DB08: D3B140B6 18036D04
	v_pk_mul_f32 v[120:121], v[4:5], v[120:121]                // 00000000DB10: D3B14078 1802F104
	v_pk_mul_f32 v[200:201], v[4:5], v[200:201]                // 00000000DB18: D3B140C8 18039104
	v_pk_mul_f32 v[122:123], v[4:5], v[122:123]                // 00000000DB20: D3B1407A 1802F504
	v_pk_mul_f32 v[202:203], v[4:5], v[202:203]                // 00000000DB28: D3B140CA 18039504
	v_pk_mul_f32 v[140:141], v[4:5], v[140:141]                // 00000000DB30: D3B1408C 18031904
	v_pk_mul_f32 v[220:221], v[4:5], v[220:221]                // 00000000DB38: D3B140DC 1803B904
	v_pk_mul_f32 v[142:143], v[4:5], v[142:143]                // 00000000DB40: D3B1408E 18031D04
	v_pk_mul_f32 v[222:223], v[4:5], v[222:223]                // 00000000DB48: D3B140DE 1803BD04
	s_cmp_eq_u32 s88, 0                                        // 00000000DB50: BF068058
	s_cbranch_scc0 label_368E                                  // 00000000DB54: BF840A35
	s_cmp_eq_u32 s89, 0                                        // 00000000DB58: BF068059
	s_cbranch_scc1 label_2F80                                  // 00000000DB5C: BF850325
	v_mov_b32_e32 v8, v1                                       // 00000000DB60: 7E100301
	v_mov_b32_e32 v9, v1                                       // 00000000DB64: 7E120301
	s_mov_b32 s60, s6                                          // 00000000DB68: BEBC0006
	s_mov_b32 s61, s6                                          // 00000000DB6C: BEBD0006
	v_pk_mul_f32 v[4:5], v[64:65], v[64:65]                    // 00000000DB70: D3B14004 18028140
	v_pk_mul_f32 v[6:7], v[66:67], v[66:67]                    // 00000000DB78: D3B14006 18028542
	v_pk_fma_f32 v[4:5], v[4:5], s[78:79], v[8:9]              // 00000000DB80: D3B04004 1C209D04
	v_pk_fma_f32 v[6:7], v[6:7], s[78:79], v[8:9]              // 00000000DB88: D3B04006 1C209D06
	v_pk_mul_f32 v[4:5], v[4:5], v[64:65]                      // 00000000DB90: D3B14004 18028104
	v_pk_mul_f32 v[6:7], v[6:7], v[66:67]                      // 00000000DB98: D3B14006 18028506
	v_pk_mul_f32 v[4:5], v[4:5], s[60:61]                      // 00000000DBA0: D3B14004 18007904
	v_pk_mul_f32 v[6:7], v[6:7], s[60:61]                      // 00000000DBA8: D3B14006 18007906
	v_exp_f32_e32 v4, v4                                       // 00000000DBB0: 7E084104
	v_exp_f32_e32 v5, v5                                       // 00000000DBB4: 7E0A4105
	v_exp_f32_e32 v6, v6                                       // 00000000DBB8: 7E0C4106
	v_exp_f32_e32 v7, v7                                       // 00000000DBBC: 7E0E4107
	v_add_f32_e64 v4, v4, 1.0                                  // 00000000DBC0: D1010004 0001E504
	v_add_f32_e64 v5, v5, 1.0                                  // 00000000DBC8: D1010005 0001E505
	v_add_f32_e64 v6, v6, 1.0                                  // 00000000DBD0: D1010006 0001E506
	v_add_f32_e64 v7, v7, 1.0                                  // 00000000DBD8: D1010007 0001E507
	v_rcp_f32_e32 v4, v4                                       // 00000000DBE0: 7E084504
	v_rcp_f32_e32 v5, v5                                       // 00000000DBE4: 7E0A4505
	v_rcp_f32_e32 v6, v6                                       // 00000000DBE8: 7E0C4506
	v_rcp_f32_e32 v7, v7                                       // 00000000DBEC: 7E0E4507
	v_mul_f32_e32 v64, v64, v4                                 // 00000000DBF0: 0A800940
	v_mul_f32_e32 v65, v65, v5                                 // 00000000DBF4: 0A820B41
	v_mul_f32_e32 v66, v66, v6                                 // 00000000DBF8: 0A840D42
	v_mul_f32_e32 v67, v67, v7                                 // 00000000DBFC: 0A860F43
	v_mul_f32_e32 v64, v64, v144                               // 00000000DC00: 0A812140
	v_mul_f32_e32 v65, v65, v145                               // 00000000DC04: 0A832341
	v_mul_f32_e32 v66, v66, v146                               // 00000000DC08: 0A852542
	v_mul_f32_e32 v67, v67, v147                               // 00000000DC0C: 0A872743
	v_pk_mul_f32 v[4:5], v[68:69], v[68:69]                    // 00000000DC10: D3B14004 18028944
	v_pk_mul_f32 v[6:7], v[70:71], v[70:71]                    // 00000000DC18: D3B14006 18028D46
	v_pk_fma_f32 v[4:5], v[4:5], s[78:79], v[8:9]              // 00000000DC20: D3B04004 1C209D04
	v_pk_fma_f32 v[6:7], v[6:7], s[78:79], v[8:9]              // 00000000DC28: D3B04006 1C209D06
	v_pk_mul_f32 v[4:5], v[4:5], v[68:69]                      // 00000000DC30: D3B14004 18028904
	v_pk_mul_f32 v[6:7], v[6:7], v[70:71]                      // 00000000DC38: D3B14006 18028D06
	v_pk_mul_f32 v[4:5], v[4:5], s[60:61]                      // 00000000DC40: D3B14004 18007904
	v_pk_mul_f32 v[6:7], v[6:7], s[60:61]                      // 00000000DC48: D3B14006 18007906
	v_exp_f32_e32 v4, v4                                       // 00000000DC50: 7E084104
	v_exp_f32_e32 v5, v5                                       // 00000000DC54: 7E0A4105
	v_exp_f32_e32 v6, v6                                       // 00000000DC58: 7E0C4106
	v_exp_f32_e32 v7, v7                                       // 00000000DC5C: 7E0E4107
	v_add_f32_e64 v4, v4, 1.0                                  // 00000000DC60: D1010004 0001E504
	v_add_f32_e64 v5, v5, 1.0                                  // 00000000DC68: D1010005 0001E505
	v_add_f32_e64 v6, v6, 1.0                                  // 00000000DC70: D1010006 0001E506
	v_add_f32_e64 v7, v7, 1.0                                  // 00000000DC78: D1010007 0001E507
	v_rcp_f32_e32 v4, v4                                       // 00000000DC80: 7E084504
	v_rcp_f32_e32 v5, v5                                       // 00000000DC84: 7E0A4505
	v_rcp_f32_e32 v6, v6                                       // 00000000DC88: 7E0C4506
	v_rcp_f32_e32 v7, v7                                       // 00000000DC8C: 7E0E4507
	v_mul_f32_e32 v68, v68, v4                                 // 00000000DC90: 0A880944
	v_mul_f32_e32 v69, v69, v5                                 // 00000000DC94: 0A8A0B45
	v_mul_f32_e32 v70, v70, v6                                 // 00000000DC98: 0A8C0D46
	v_mul_f32_e32 v71, v71, v7                                 // 00000000DC9C: 0A8E0F47
	v_mul_f32_e32 v68, v68, v148                               // 00000000DCA0: 0A892944
	v_mul_f32_e32 v69, v69, v149                               // 00000000DCA4: 0A8B2B45
	v_mul_f32_e32 v70, v70, v150                               // 00000000DCA8: 0A8D2D46
	v_mul_f32_e32 v71, v71, v151                               // 00000000DCAC: 0A8F2F47
	v_pk_mul_f32 v[4:5], v[72:73], v[72:73]                    // 00000000DCB0: D3B14004 18029148
	v_pk_mul_f32 v[6:7], v[74:75], v[74:75]                    // 00000000DCB8: D3B14006 1802954A
	v_pk_fma_f32 v[4:5], v[4:5], s[78:79], v[8:9]              // 00000000DCC0: D3B04004 1C209D04
	v_pk_fma_f32 v[6:7], v[6:7], s[78:79], v[8:9]              // 00000000DCC8: D3B04006 1C209D06
	v_pk_mul_f32 v[4:5], v[4:5], v[72:73]                      // 00000000DCD0: D3B14004 18029104
	v_pk_mul_f32 v[6:7], v[6:7], v[74:75]                      // 00000000DCD8: D3B14006 18029506
	v_pk_mul_f32 v[4:5], v[4:5], s[60:61]                      // 00000000DCE0: D3B14004 18007904
	v_pk_mul_f32 v[6:7], v[6:7], s[60:61]                      // 00000000DCE8: D3B14006 18007906
	v_exp_f32_e32 v4, v4                                       // 00000000DCF0: 7E084104
	v_exp_f32_e32 v5, v5                                       // 00000000DCF4: 7E0A4105
	v_exp_f32_e32 v6, v6                                       // 00000000DCF8: 7E0C4106
	v_exp_f32_e32 v7, v7                                       // 00000000DCFC: 7E0E4107
	v_add_f32_e64 v4, v4, 1.0                                  // 00000000DD00: D1010004 0001E504
	v_add_f32_e64 v5, v5, 1.0                                  // 00000000DD08: D1010005 0001E505
	v_add_f32_e64 v6, v6, 1.0                                  // 00000000DD10: D1010006 0001E506
	v_add_f32_e64 v7, v7, 1.0                                  // 00000000DD18: D1010007 0001E507
	v_rcp_f32_e32 v4, v4                                       // 00000000DD20: 7E084504
	v_rcp_f32_e32 v5, v5                                       // 00000000DD24: 7E0A4505
	v_rcp_f32_e32 v6, v6                                       // 00000000DD28: 7E0C4506
	v_rcp_f32_e32 v7, v7                                       // 00000000DD2C: 7E0E4507
	v_mul_f32_e32 v72, v72, v4                                 // 00000000DD30: 0A900948
	v_mul_f32_e32 v73, v73, v5                                 // 00000000DD34: 0A920B49
	v_mul_f32_e32 v74, v74, v6                                 // 00000000DD38: 0A940D4A
	v_mul_f32_e32 v75, v75, v7                                 // 00000000DD3C: 0A960F4B
	v_mul_f32_e32 v72, v72, v152                               // 00000000DD40: 0A913148
	v_mul_f32_e32 v73, v73, v153                               // 00000000DD44: 0A933349
	v_mul_f32_e32 v74, v74, v154                               // 00000000DD48: 0A95354A
	v_mul_f32_e32 v75, v75, v155                               // 00000000DD4C: 0A97374B
	v_pk_mul_f32 v[4:5], v[76:77], v[76:77]                    // 00000000DD50: D3B14004 1802994C
	v_pk_mul_f32 v[6:7], v[78:79], v[78:79]                    // 00000000DD58: D3B14006 18029D4E
	v_pk_fma_f32 v[4:5], v[4:5], s[78:79], v[8:9]              // 00000000DD60: D3B04004 1C209D04
	v_pk_fma_f32 v[6:7], v[6:7], s[78:79], v[8:9]              // 00000000DD68: D3B04006 1C209D06
	v_pk_mul_f32 v[4:5], v[4:5], v[76:77]                      // 00000000DD70: D3B14004 18029904
	v_pk_mul_f32 v[6:7], v[6:7], v[78:79]                      // 00000000DD78: D3B14006 18029D06
	v_pk_mul_f32 v[4:5], v[4:5], s[60:61]                      // 00000000DD80: D3B14004 18007904
	v_pk_mul_f32 v[6:7], v[6:7], s[60:61]                      // 00000000DD88: D3B14006 18007906
	v_exp_f32_e32 v4, v4                                       // 00000000DD90: 7E084104
	v_exp_f32_e32 v5, v5                                       // 00000000DD94: 7E0A4105
	v_exp_f32_e32 v6, v6                                       // 00000000DD98: 7E0C4106
	v_exp_f32_e32 v7, v7                                       // 00000000DD9C: 7E0E4107
	v_add_f32_e64 v4, v4, 1.0                                  // 00000000DDA0: D1010004 0001E504
	v_add_f32_e64 v5, v5, 1.0                                  // 00000000DDA8: D1010005 0001E505
	v_add_f32_e64 v6, v6, 1.0                                  // 00000000DDB0: D1010006 0001E506
	v_add_f32_e64 v7, v7, 1.0                                  // 00000000DDB8: D1010007 0001E507
	v_rcp_f32_e32 v4, v4                                       // 00000000DDC0: 7E084504
	v_rcp_f32_e32 v5, v5                                       // 00000000DDC4: 7E0A4505
	v_rcp_f32_e32 v6, v6                                       // 00000000DDC8: 7E0C4506
	v_rcp_f32_e32 v7, v7                                       // 00000000DDCC: 7E0E4507
	v_mul_f32_e32 v76, v76, v4                                 // 00000000DDD0: 0A98094C
	v_mul_f32_e32 v77, v77, v5                                 // 00000000DDD4: 0A9A0B4D
	v_mul_f32_e32 v78, v78, v6                                 // 00000000DDD8: 0A9C0D4E
	v_mul_f32_e32 v79, v79, v7                                 // 00000000DDDC: 0A9E0F4F
	v_mul_f32_e32 v76, v76, v156                               // 00000000DDE0: 0A99394C
	v_mul_f32_e32 v77, v77, v157                               // 00000000DDE4: 0A9B3B4D
	v_mul_f32_e32 v78, v78, v158                               // 00000000DDE8: 0A9D3D4E
	v_mul_f32_e32 v79, v79, v159                               // 00000000DDEC: 0A9F3F4F
	v_pk_mul_f32 v[4:5], v[80:81], v[80:81]                    // 00000000DDF0: D3B14004 1802A150
	v_pk_mul_f32 v[6:7], v[82:83], v[82:83]                    // 00000000DDF8: D3B14006 1802A552
	v_pk_fma_f32 v[4:5], v[4:5], s[78:79], v[8:9]              // 00000000DE00: D3B04004 1C209D04
	v_pk_fma_f32 v[6:7], v[6:7], s[78:79], v[8:9]              // 00000000DE08: D3B04006 1C209D06
	v_pk_mul_f32 v[4:5], v[4:5], v[80:81]                      // 00000000DE10: D3B14004 1802A104
	v_pk_mul_f32 v[6:7], v[6:7], v[82:83]                      // 00000000DE18: D3B14006 1802A506
	v_pk_mul_f32 v[4:5], v[4:5], s[60:61]                      // 00000000DE20: D3B14004 18007904
	v_pk_mul_f32 v[6:7], v[6:7], s[60:61]                      // 00000000DE28: D3B14006 18007906
	v_exp_f32_e32 v4, v4                                       // 00000000DE30: 7E084104
	v_exp_f32_e32 v5, v5                                       // 00000000DE34: 7E0A4105
	v_exp_f32_e32 v6, v6                                       // 00000000DE38: 7E0C4106
	v_exp_f32_e32 v7, v7                                       // 00000000DE3C: 7E0E4107
	v_add_f32_e64 v4, v4, 1.0                                  // 00000000DE40: D1010004 0001E504
	v_add_f32_e64 v5, v5, 1.0                                  // 00000000DE48: D1010005 0001E505
	v_add_f32_e64 v6, v6, 1.0                                  // 00000000DE50: D1010006 0001E506
	v_add_f32_e64 v7, v7, 1.0                                  // 00000000DE58: D1010007 0001E507
	v_rcp_f32_e32 v4, v4                                       // 00000000DE60: 7E084504
	v_rcp_f32_e32 v5, v5                                       // 00000000DE64: 7E0A4505
	v_rcp_f32_e32 v6, v6                                       // 00000000DE68: 7E0C4506
	v_rcp_f32_e32 v7, v7                                       // 00000000DE6C: 7E0E4507
	v_mul_f32_e32 v80, v80, v4                                 // 00000000DE70: 0AA00950
	v_mul_f32_e32 v81, v81, v5                                 // 00000000DE74: 0AA20B51
	v_mul_f32_e32 v82, v82, v6                                 // 00000000DE78: 0AA40D52
	v_mul_f32_e32 v83, v83, v7                                 // 00000000DE7C: 0AA60F53
	v_mul_f32_e32 v80, v80, v160                               // 00000000DE80: 0AA14150
	v_mul_f32_e32 v81, v81, v161                               // 00000000DE84: 0AA34351
	v_mul_f32_e32 v82, v82, v162                               // 00000000DE88: 0AA54552
	v_mul_f32_e32 v83, v83, v163                               // 00000000DE8C: 0AA74753
	v_pk_mul_f32 v[4:5], v[84:85], v[84:85]                    // 00000000DE90: D3B14004 1802A954
	v_pk_mul_f32 v[6:7], v[86:87], v[86:87]                    // 00000000DE98: D3B14006 1802AD56
	v_pk_fma_f32 v[4:5], v[4:5], s[78:79], v[8:9]              // 00000000DEA0: D3B04004 1C209D04
	v_pk_fma_f32 v[6:7], v[6:7], s[78:79], v[8:9]              // 00000000DEA8: D3B04006 1C209D06
	v_pk_mul_f32 v[4:5], v[4:5], v[84:85]                      // 00000000DEB0: D3B14004 1802A904
	v_pk_mul_f32 v[6:7], v[6:7], v[86:87]                      // 00000000DEB8: D3B14006 1802AD06
	v_pk_mul_f32 v[4:5], v[4:5], s[60:61]                      // 00000000DEC0: D3B14004 18007904
	v_pk_mul_f32 v[6:7], v[6:7], s[60:61]                      // 00000000DEC8: D3B14006 18007906
	v_exp_f32_e32 v4, v4                                       // 00000000DED0: 7E084104
	v_exp_f32_e32 v5, v5                                       // 00000000DED4: 7E0A4105
	v_exp_f32_e32 v6, v6                                       // 00000000DED8: 7E0C4106
	v_exp_f32_e32 v7, v7                                       // 00000000DEDC: 7E0E4107
	v_add_f32_e64 v4, v4, 1.0                                  // 00000000DEE0: D1010004 0001E504
	v_add_f32_e64 v5, v5, 1.0                                  // 00000000DEE8: D1010005 0001E505
	v_add_f32_e64 v6, v6, 1.0                                  // 00000000DEF0: D1010006 0001E506
	v_add_f32_e64 v7, v7, 1.0                                  // 00000000DEF8: D1010007 0001E507
	v_rcp_f32_e32 v4, v4                                       // 00000000DF00: 7E084504
	v_rcp_f32_e32 v5, v5                                       // 00000000DF04: 7E0A4505
	v_rcp_f32_e32 v6, v6                                       // 00000000DF08: 7E0C4506
	v_rcp_f32_e32 v7, v7                                       // 00000000DF0C: 7E0E4507
	v_mul_f32_e32 v84, v84, v4                                 // 00000000DF10: 0AA80954
	v_mul_f32_e32 v85, v85, v5                                 // 00000000DF14: 0AAA0B55
	v_mul_f32_e32 v86, v86, v6                                 // 00000000DF18: 0AAC0D56
	v_mul_f32_e32 v87, v87, v7                                 // 00000000DF1C: 0AAE0F57
	v_mul_f32_e32 v84, v84, v164                               // 00000000DF20: 0AA94954
	v_mul_f32_e32 v85, v85, v165                               // 00000000DF24: 0AAB4B55
	v_mul_f32_e32 v86, v86, v166                               // 00000000DF28: 0AAD4D56
	v_mul_f32_e32 v87, v87, v167                               // 00000000DF2C: 0AAF4F57
	v_pk_mul_f32 v[4:5], v[88:89], v[88:89]                    // 00000000DF30: D3B14004 1802B158
	v_pk_mul_f32 v[6:7], v[90:91], v[90:91]                    // 00000000DF38: D3B14006 1802B55A
	v_pk_fma_f32 v[4:5], v[4:5], s[78:79], v[8:9]              // 00000000DF40: D3B04004 1C209D04
	v_pk_fma_f32 v[6:7], v[6:7], s[78:79], v[8:9]              // 00000000DF48: D3B04006 1C209D06
	v_pk_mul_f32 v[4:5], v[4:5], v[88:89]                      // 00000000DF50: D3B14004 1802B104
	v_pk_mul_f32 v[6:7], v[6:7], v[90:91]                      // 00000000DF58: D3B14006 1802B506
	v_pk_mul_f32 v[4:5], v[4:5], s[60:61]                      // 00000000DF60: D3B14004 18007904
	v_pk_mul_f32 v[6:7], v[6:7], s[60:61]                      // 00000000DF68: D3B14006 18007906
	v_exp_f32_e32 v4, v4                                       // 00000000DF70: 7E084104
	v_exp_f32_e32 v5, v5                                       // 00000000DF74: 7E0A4105
	v_exp_f32_e32 v6, v6                                       // 00000000DF78: 7E0C4106
	v_exp_f32_e32 v7, v7                                       // 00000000DF7C: 7E0E4107
	v_add_f32_e64 v4, v4, 1.0                                  // 00000000DF80: D1010004 0001E504
	v_add_f32_e64 v5, v5, 1.0                                  // 00000000DF88: D1010005 0001E505
	v_add_f32_e64 v6, v6, 1.0                                  // 00000000DF90: D1010006 0001E506
	v_add_f32_e64 v7, v7, 1.0                                  // 00000000DF98: D1010007 0001E507
	v_rcp_f32_e32 v4, v4                                       // 00000000DFA0: 7E084504
	v_rcp_f32_e32 v5, v5                                       // 00000000DFA4: 7E0A4505
	v_rcp_f32_e32 v6, v6                                       // 00000000DFA8: 7E0C4506
	v_rcp_f32_e32 v7, v7                                       // 00000000DFAC: 7E0E4507
	v_mul_f32_e32 v88, v88, v4                                 // 00000000DFB0: 0AB00958
	v_mul_f32_e32 v89, v89, v5                                 // 00000000DFB4: 0AB20B59
	v_mul_f32_e32 v90, v90, v6                                 // 00000000DFB8: 0AB40D5A
	v_mul_f32_e32 v91, v91, v7                                 // 00000000DFBC: 0AB60F5B
	v_mul_f32_e32 v88, v88, v168                               // 00000000DFC0: 0AB15158
	v_mul_f32_e32 v89, v89, v169                               // 00000000DFC4: 0AB35359
	v_mul_f32_e32 v90, v90, v170                               // 00000000DFC8: 0AB5555A
	v_mul_f32_e32 v91, v91, v171                               // 00000000DFCC: 0AB7575B
	v_pk_mul_f32 v[4:5], v[92:93], v[92:93]                    // 00000000DFD0: D3B14004 1802B95C
	v_pk_mul_f32 v[6:7], v[94:95], v[94:95]                    // 00000000DFD8: D3B14006 1802BD5E
	v_pk_fma_f32 v[4:5], v[4:5], s[78:79], v[8:9]              // 00000000DFE0: D3B04004 1C209D04
	v_pk_fma_f32 v[6:7], v[6:7], s[78:79], v[8:9]              // 00000000DFE8: D3B04006 1C209D06
	v_pk_mul_f32 v[4:5], v[4:5], v[92:93]                      // 00000000DFF0: D3B14004 1802B904
	v_pk_mul_f32 v[6:7], v[6:7], v[94:95]                      // 00000000DFF8: D3B14006 1802BD06
	v_pk_mul_f32 v[4:5], v[4:5], s[60:61]                      // 00000000E000: D3B14004 18007904
	v_pk_mul_f32 v[6:7], v[6:7], s[60:61]                      // 00000000E008: D3B14006 18007906
	v_exp_f32_e32 v4, v4                                       // 00000000E010: 7E084104
	v_exp_f32_e32 v5, v5                                       // 00000000E014: 7E0A4105
	v_exp_f32_e32 v6, v6                                       // 00000000E018: 7E0C4106
	v_exp_f32_e32 v7, v7                                       // 00000000E01C: 7E0E4107
	v_add_f32_e64 v4, v4, 1.0                                  // 00000000E020: D1010004 0001E504
	v_add_f32_e64 v5, v5, 1.0                                  // 00000000E028: D1010005 0001E505
	v_add_f32_e64 v6, v6, 1.0                                  // 00000000E030: D1010006 0001E506
	v_add_f32_e64 v7, v7, 1.0                                  // 00000000E038: D1010007 0001E507
	v_rcp_f32_e32 v4, v4                                       // 00000000E040: 7E084504
	v_rcp_f32_e32 v5, v5                                       // 00000000E044: 7E0A4505
	v_rcp_f32_e32 v6, v6                                       // 00000000E048: 7E0C4506
	v_rcp_f32_e32 v7, v7                                       // 00000000E04C: 7E0E4507
	v_mul_f32_e32 v92, v92, v4                                 // 00000000E050: 0AB8095C
	v_mul_f32_e32 v93, v93, v5                                 // 00000000E054: 0ABA0B5D
	v_mul_f32_e32 v94, v94, v6                                 // 00000000E058: 0ABC0D5E
	v_mul_f32_e32 v95, v95, v7                                 // 00000000E05C: 0ABE0F5F
	v_mul_f32_e32 v92, v92, v172                               // 00000000E060: 0AB9595C
	v_mul_f32_e32 v93, v93, v173                               // 00000000E064: 0ABB5B5D
	v_mul_f32_e32 v94, v94, v174                               // 00000000E068: 0ABD5D5E
	v_mul_f32_e32 v95, v95, v175                               // 00000000E06C: 0ABF5F5F
	v_pk_mul_f32 v[4:5], v[96:97], v[96:97]                    // 00000000E070: D3B14004 1802C160
	v_pk_mul_f32 v[6:7], v[98:99], v[98:99]                    // 00000000E078: D3B14006 1802C562
	v_pk_fma_f32 v[4:5], v[4:5], s[78:79], v[8:9]              // 00000000E080: D3B04004 1C209D04
	v_pk_fma_f32 v[6:7], v[6:7], s[78:79], v[8:9]              // 00000000E088: D3B04006 1C209D06
	v_pk_mul_f32 v[4:5], v[4:5], v[96:97]                      // 00000000E090: D3B14004 1802C104
	v_pk_mul_f32 v[6:7], v[6:7], v[98:99]                      // 00000000E098: D3B14006 1802C506
	v_pk_mul_f32 v[4:5], v[4:5], s[60:61]                      // 00000000E0A0: D3B14004 18007904
	v_pk_mul_f32 v[6:7], v[6:7], s[60:61]                      // 00000000E0A8: D3B14006 18007906
	v_exp_f32_e32 v4, v4                                       // 00000000E0B0: 7E084104
	v_exp_f32_e32 v5, v5                                       // 00000000E0B4: 7E0A4105
	v_exp_f32_e32 v6, v6                                       // 00000000E0B8: 7E0C4106
	v_exp_f32_e32 v7, v7                                       // 00000000E0BC: 7E0E4107
	v_add_f32_e64 v4, v4, 1.0                                  // 00000000E0C0: D1010004 0001E504
	v_add_f32_e64 v5, v5, 1.0                                  // 00000000E0C8: D1010005 0001E505
	v_add_f32_e64 v6, v6, 1.0                                  // 00000000E0D0: D1010006 0001E506
	v_add_f32_e64 v7, v7, 1.0                                  // 00000000E0D8: D1010007 0001E507
	v_rcp_f32_e32 v4, v4                                       // 00000000E0E0: 7E084504
	v_rcp_f32_e32 v5, v5                                       // 00000000E0E4: 7E0A4505
	v_rcp_f32_e32 v6, v6                                       // 00000000E0E8: 7E0C4506
	v_rcp_f32_e32 v7, v7                                       // 00000000E0EC: 7E0E4507
	v_mul_f32_e32 v96, v96, v4                                 // 00000000E0F0: 0AC00960
	v_mul_f32_e32 v97, v97, v5                                 // 00000000E0F4: 0AC20B61
	v_mul_f32_e32 v98, v98, v6                                 // 00000000E0F8: 0AC40D62
	v_mul_f32_e32 v99, v99, v7                                 // 00000000E0FC: 0AC60F63
	v_mul_f32_e32 v96, v96, v176                               // 00000000E100: 0AC16160
	v_mul_f32_e32 v97, v97, v177                               // 00000000E104: 0AC36361
	v_mul_f32_e32 v98, v98, v178                               // 00000000E108: 0AC56562
	v_mul_f32_e32 v99, v99, v179                               // 00000000E10C: 0AC76763
	v_pk_mul_f32 v[4:5], v[100:101], v[100:101]                // 00000000E110: D3B14004 1802C964
	v_pk_mul_f32 v[6:7], v[102:103], v[102:103]                // 00000000E118: D3B14006 1802CD66
	v_pk_fma_f32 v[4:5], v[4:5], s[78:79], v[8:9]              // 00000000E120: D3B04004 1C209D04
	v_pk_fma_f32 v[6:7], v[6:7], s[78:79], v[8:9]              // 00000000E128: D3B04006 1C209D06
	v_pk_mul_f32 v[4:5], v[4:5], v[100:101]                    // 00000000E130: D3B14004 1802C904
	v_pk_mul_f32 v[6:7], v[6:7], v[102:103]                    // 00000000E138: D3B14006 1802CD06
	v_pk_mul_f32 v[4:5], v[4:5], s[60:61]                      // 00000000E140: D3B14004 18007904
	v_pk_mul_f32 v[6:7], v[6:7], s[60:61]                      // 00000000E148: D3B14006 18007906
	v_exp_f32_e32 v4, v4                                       // 00000000E150: 7E084104
	v_exp_f32_e32 v5, v5                                       // 00000000E154: 7E0A4105
	v_exp_f32_e32 v6, v6                                       // 00000000E158: 7E0C4106
	v_exp_f32_e32 v7, v7                                       // 00000000E15C: 7E0E4107
	v_add_f32_e64 v4, v4, 1.0                                  // 00000000E160: D1010004 0001E504
	v_add_f32_e64 v5, v5, 1.0                                  // 00000000E168: D1010005 0001E505
	v_add_f32_e64 v6, v6, 1.0                                  // 00000000E170: D1010006 0001E506
	v_add_f32_e64 v7, v7, 1.0                                  // 00000000E178: D1010007 0001E507
	v_rcp_f32_e32 v4, v4                                       // 00000000E180: 7E084504
	v_rcp_f32_e32 v5, v5                                       // 00000000E184: 7E0A4505
	v_rcp_f32_e32 v6, v6                                       // 00000000E188: 7E0C4506
	v_rcp_f32_e32 v7, v7                                       // 00000000E18C: 7E0E4507
	v_mul_f32_e32 v100, v100, v4                               // 00000000E190: 0AC80964
	v_mul_f32_e32 v101, v101, v5                               // 00000000E194: 0ACA0B65
	v_mul_f32_e32 v102, v102, v6                               // 00000000E198: 0ACC0D66
	v_mul_f32_e32 v103, v103, v7                               // 00000000E19C: 0ACE0F67
	v_mul_f32_e32 v100, v100, v180                             // 00000000E1A0: 0AC96964
	v_mul_f32_e32 v101, v101, v181                             // 00000000E1A4: 0ACB6B65
	v_mul_f32_e32 v102, v102, v182                             // 00000000E1A8: 0ACD6D66
	v_mul_f32_e32 v103, v103, v183                             // 00000000E1AC: 0ACF6F67
	v_pk_mul_f32 v[4:5], v[104:105], v[104:105]                // 00000000E1B0: D3B14004 1802D168
	v_pk_mul_f32 v[6:7], v[106:107], v[106:107]                // 00000000E1B8: D3B14006 1802D56A
	v_pk_fma_f32 v[4:5], v[4:5], s[78:79], v[8:9]              // 00000000E1C0: D3B04004 1C209D04
	v_pk_fma_f32 v[6:7], v[6:7], s[78:79], v[8:9]              // 00000000E1C8: D3B04006 1C209D06
	v_pk_mul_f32 v[4:5], v[4:5], v[104:105]                    // 00000000E1D0: D3B14004 1802D104
	v_pk_mul_f32 v[6:7], v[6:7], v[106:107]                    // 00000000E1D8: D3B14006 1802D506
	v_pk_mul_f32 v[4:5], v[4:5], s[60:61]                      // 00000000E1E0: D3B14004 18007904
	v_pk_mul_f32 v[6:7], v[6:7], s[60:61]                      // 00000000E1E8: D3B14006 18007906
	v_exp_f32_e32 v4, v4                                       // 00000000E1F0: 7E084104
	v_exp_f32_e32 v5, v5                                       // 00000000E1F4: 7E0A4105
	v_exp_f32_e32 v6, v6                                       // 00000000E1F8: 7E0C4106
	v_exp_f32_e32 v7, v7                                       // 00000000E1FC: 7E0E4107
	v_add_f32_e64 v4, v4, 1.0                                  // 00000000E200: D1010004 0001E504
	v_add_f32_e64 v5, v5, 1.0                                  // 00000000E208: D1010005 0001E505
	v_add_f32_e64 v6, v6, 1.0                                  // 00000000E210: D1010006 0001E506
	v_add_f32_e64 v7, v7, 1.0                                  // 00000000E218: D1010007 0001E507
	v_rcp_f32_e32 v4, v4                                       // 00000000E220: 7E084504
	v_rcp_f32_e32 v5, v5                                       // 00000000E224: 7E0A4505
	v_rcp_f32_e32 v6, v6                                       // 00000000E228: 7E0C4506
	v_rcp_f32_e32 v7, v7                                       // 00000000E22C: 7E0E4507
	v_mul_f32_e32 v104, v104, v4                               // 00000000E230: 0AD00968
	v_mul_f32_e32 v105, v105, v5                               // 00000000E234: 0AD20B69
	v_mul_f32_e32 v106, v106, v6                               // 00000000E238: 0AD40D6A
	v_mul_f32_e32 v107, v107, v7                               // 00000000E23C: 0AD60F6B
	v_mul_f32_e32 v104, v104, v184                             // 00000000E240: 0AD17168
	v_mul_f32_e32 v105, v105, v185                             // 00000000E244: 0AD37369
	v_mul_f32_e32 v106, v106, v186                             // 00000000E248: 0AD5756A
	v_mul_f32_e32 v107, v107, v187                             // 00000000E24C: 0AD7776B
	v_pk_mul_f32 v[4:5], v[108:109], v[108:109]                // 00000000E250: D3B14004 1802D96C
	v_pk_mul_f32 v[6:7], v[110:111], v[110:111]                // 00000000E258: D3B14006 1802DD6E
	v_pk_fma_f32 v[4:5], v[4:5], s[78:79], v[8:9]              // 00000000E260: D3B04004 1C209D04
	v_pk_fma_f32 v[6:7], v[6:7], s[78:79], v[8:9]              // 00000000E268: D3B04006 1C209D06
	v_pk_mul_f32 v[4:5], v[4:5], v[108:109]                    // 00000000E270: D3B14004 1802D904
	v_pk_mul_f32 v[6:7], v[6:7], v[110:111]                    // 00000000E278: D3B14006 1802DD06
	v_pk_mul_f32 v[4:5], v[4:5], s[60:61]                      // 00000000E280: D3B14004 18007904
	v_pk_mul_f32 v[6:7], v[6:7], s[60:61]                      // 00000000E288: D3B14006 18007906
	v_exp_f32_e32 v4, v4                                       // 00000000E290: 7E084104
	v_exp_f32_e32 v5, v5                                       // 00000000E294: 7E0A4105
	v_exp_f32_e32 v6, v6                                       // 00000000E298: 7E0C4106
	v_exp_f32_e32 v7, v7                                       // 00000000E29C: 7E0E4107
	v_add_f32_e64 v4, v4, 1.0                                  // 00000000E2A0: D1010004 0001E504
	v_add_f32_e64 v5, v5, 1.0                                  // 00000000E2A8: D1010005 0001E505
	v_add_f32_e64 v6, v6, 1.0                                  // 00000000E2B0: D1010006 0001E506
	v_add_f32_e64 v7, v7, 1.0                                  // 00000000E2B8: D1010007 0001E507
	v_rcp_f32_e32 v4, v4                                       // 00000000E2C0: 7E084504
	v_rcp_f32_e32 v5, v5                                       // 00000000E2C4: 7E0A4505
	v_rcp_f32_e32 v6, v6                                       // 00000000E2C8: 7E0C4506
	v_rcp_f32_e32 v7, v7                                       // 00000000E2CC: 7E0E4507
	v_mul_f32_e32 v108, v108, v4                               // 00000000E2D0: 0AD8096C
	v_mul_f32_e32 v109, v109, v5                               // 00000000E2D4: 0ADA0B6D
	v_mul_f32_e32 v110, v110, v6                               // 00000000E2D8: 0ADC0D6E
	v_mul_f32_e32 v111, v111, v7                               // 00000000E2DC: 0ADE0F6F
	v_mul_f32_e32 v108, v108, v188                             // 00000000E2E0: 0AD9796C
	v_mul_f32_e32 v109, v109, v189                             // 00000000E2E4: 0ADB7B6D
	v_mul_f32_e32 v110, v110, v190                             // 00000000E2E8: 0ADD7D6E
	v_mul_f32_e32 v111, v111, v191                             // 00000000E2EC: 0ADF7F6F
	v_pk_mul_f32 v[4:5], v[112:113], v[112:113]                // 00000000E2F0: D3B14004 1802E170
	v_pk_mul_f32 v[6:7], v[114:115], v[114:115]                // 00000000E2F8: D3B14006 1802E572
	v_pk_fma_f32 v[4:5], v[4:5], s[78:79], v[8:9]              // 00000000E300: D3B04004 1C209D04
	v_pk_fma_f32 v[6:7], v[6:7], s[78:79], v[8:9]              // 00000000E308: D3B04006 1C209D06
	v_pk_mul_f32 v[4:5], v[4:5], v[112:113]                    // 00000000E310: D3B14004 1802E104
	v_pk_mul_f32 v[6:7], v[6:7], v[114:115]                    // 00000000E318: D3B14006 1802E506
	v_pk_mul_f32 v[4:5], v[4:5], s[60:61]                      // 00000000E320: D3B14004 18007904
	v_pk_mul_f32 v[6:7], v[6:7], s[60:61]                      // 00000000E328: D3B14006 18007906
	v_exp_f32_e32 v4, v4                                       // 00000000E330: 7E084104
	v_exp_f32_e32 v5, v5                                       // 00000000E334: 7E0A4105
	v_exp_f32_e32 v6, v6                                       // 00000000E338: 7E0C4106
	v_exp_f32_e32 v7, v7                                       // 00000000E33C: 7E0E4107
	v_add_f32_e64 v4, v4, 1.0                                  // 00000000E340: D1010004 0001E504
	v_add_f32_e64 v5, v5, 1.0                                  // 00000000E348: D1010005 0001E505
	v_add_f32_e64 v6, v6, 1.0                                  // 00000000E350: D1010006 0001E506
	v_add_f32_e64 v7, v7, 1.0                                  // 00000000E358: D1010007 0001E507
	v_rcp_f32_e32 v4, v4                                       // 00000000E360: 7E084504
	v_rcp_f32_e32 v5, v5                                       // 00000000E364: 7E0A4505
	v_rcp_f32_e32 v6, v6                                       // 00000000E368: 7E0C4506
	v_rcp_f32_e32 v7, v7                                       // 00000000E36C: 7E0E4507
	v_mul_f32_e32 v112, v112, v4                               // 00000000E370: 0AE00970
	v_mul_f32_e32 v113, v113, v5                               // 00000000E374: 0AE20B71
	v_mul_f32_e32 v114, v114, v6                               // 00000000E378: 0AE40D72
	v_mul_f32_e32 v115, v115, v7                               // 00000000E37C: 0AE60F73
	v_mul_f32_e32 v112, v112, v192                             // 00000000E380: 0AE18170
	v_mul_f32_e32 v113, v113, v193                             // 00000000E384: 0AE38371
	v_mul_f32_e32 v114, v114, v194                             // 00000000E388: 0AE58572
	v_mul_f32_e32 v115, v115, v195                             // 00000000E38C: 0AE78773
	v_pk_mul_f32 v[4:5], v[116:117], v[116:117]                // 00000000E390: D3B14004 1802E974
	v_pk_mul_f32 v[6:7], v[118:119], v[118:119]                // 00000000E398: D3B14006 1802ED76
	v_pk_fma_f32 v[4:5], v[4:5], s[78:79], v[8:9]              // 00000000E3A0: D3B04004 1C209D04
	v_pk_fma_f32 v[6:7], v[6:7], s[78:79], v[8:9]              // 00000000E3A8: D3B04006 1C209D06
	v_pk_mul_f32 v[4:5], v[4:5], v[116:117]                    // 00000000E3B0: D3B14004 1802E904
	v_pk_mul_f32 v[6:7], v[6:7], v[118:119]                    // 00000000E3B8: D3B14006 1802ED06
	v_pk_mul_f32 v[4:5], v[4:5], s[60:61]                      // 00000000E3C0: D3B14004 18007904
	v_pk_mul_f32 v[6:7], v[6:7], s[60:61]                      // 00000000E3C8: D3B14006 18007906
	v_exp_f32_e32 v4, v4                                       // 00000000E3D0: 7E084104
	v_exp_f32_e32 v5, v5                                       // 00000000E3D4: 7E0A4105
	v_exp_f32_e32 v6, v6                                       // 00000000E3D8: 7E0C4106
	v_exp_f32_e32 v7, v7                                       // 00000000E3DC: 7E0E4107
	v_add_f32_e64 v4, v4, 1.0                                  // 00000000E3E0: D1010004 0001E504
	v_add_f32_e64 v5, v5, 1.0                                  // 00000000E3E8: D1010005 0001E505
	v_add_f32_e64 v6, v6, 1.0                                  // 00000000E3F0: D1010006 0001E506
	v_add_f32_e64 v7, v7, 1.0                                  // 00000000E3F8: D1010007 0001E507
	v_rcp_f32_e32 v4, v4                                       // 00000000E400: 7E084504
	v_rcp_f32_e32 v5, v5                                       // 00000000E404: 7E0A4505
	v_rcp_f32_e32 v6, v6                                       // 00000000E408: 7E0C4506
	v_rcp_f32_e32 v7, v7                                       // 00000000E40C: 7E0E4507
	v_mul_f32_e32 v116, v116, v4                               // 00000000E410: 0AE80974
	v_mul_f32_e32 v117, v117, v5                               // 00000000E414: 0AEA0B75
	v_mul_f32_e32 v118, v118, v6                               // 00000000E418: 0AEC0D76
	v_mul_f32_e32 v119, v119, v7                               // 00000000E41C: 0AEE0F77
	v_mul_f32_e32 v116, v116, v196                             // 00000000E420: 0AE98974
	v_mul_f32_e32 v117, v117, v197                             // 00000000E424: 0AEB8B75
	v_mul_f32_e32 v118, v118, v198                             // 00000000E428: 0AED8D76
	v_mul_f32_e32 v119, v119, v199                             // 00000000E42C: 0AEF8F77
	v_pk_mul_f32 v[4:5], v[120:121], v[120:121]                // 00000000E430: D3B14004 1802F178
	v_pk_mul_f32 v[6:7], v[122:123], v[122:123]                // 00000000E438: D3B14006 1802F57A
	v_pk_fma_f32 v[4:5], v[4:5], s[78:79], v[8:9]              // 00000000E440: D3B04004 1C209D04
	v_pk_fma_f32 v[6:7], v[6:7], s[78:79], v[8:9]              // 00000000E448: D3B04006 1C209D06
	v_pk_mul_f32 v[4:5], v[4:5], v[120:121]                    // 00000000E450: D3B14004 1802F104
	v_pk_mul_f32 v[6:7], v[6:7], v[122:123]                    // 00000000E458: D3B14006 1802F506
	v_pk_mul_f32 v[4:5], v[4:5], s[60:61]                      // 00000000E460: D3B14004 18007904
	v_pk_mul_f32 v[6:7], v[6:7], s[60:61]                      // 00000000E468: D3B14006 18007906
	v_exp_f32_e32 v4, v4                                       // 00000000E470: 7E084104
	v_exp_f32_e32 v5, v5                                       // 00000000E474: 7E0A4105
	v_exp_f32_e32 v6, v6                                       // 00000000E478: 7E0C4106
	v_exp_f32_e32 v7, v7                                       // 00000000E47C: 7E0E4107
	v_add_f32_e64 v4, v4, 1.0                                  // 00000000E480: D1010004 0001E504
	v_add_f32_e64 v5, v5, 1.0                                  // 00000000E488: D1010005 0001E505
	v_add_f32_e64 v6, v6, 1.0                                  // 00000000E490: D1010006 0001E506
	v_add_f32_e64 v7, v7, 1.0                                  // 00000000E498: D1010007 0001E507
	v_rcp_f32_e32 v4, v4                                       // 00000000E4A0: 7E084504
	v_rcp_f32_e32 v5, v5                                       // 00000000E4A4: 7E0A4505
	v_rcp_f32_e32 v6, v6                                       // 00000000E4A8: 7E0C4506
	v_rcp_f32_e32 v7, v7                                       // 00000000E4AC: 7E0E4507
	v_mul_f32_e32 v120, v120, v4                               // 00000000E4B0: 0AF00978
	v_mul_f32_e32 v121, v121, v5                               // 00000000E4B4: 0AF20B79
	v_mul_f32_e32 v122, v122, v6                               // 00000000E4B8: 0AF40D7A
	v_mul_f32_e32 v123, v123, v7                               // 00000000E4BC: 0AF60F7B
	v_mul_f32_e32 v120, v120, v200                             // 00000000E4C0: 0AF19178
	v_mul_f32_e32 v121, v121, v201                             // 00000000E4C4: 0AF39379
	v_mul_f32_e32 v122, v122, v202                             // 00000000E4C8: 0AF5957A
	v_mul_f32_e32 v123, v123, v203                             // 00000000E4CC: 0AF7977B
	v_pk_mul_f32 v[4:5], v[124:125], v[124:125]                // 00000000E4D0: D3B14004 1802F97C
	v_pk_mul_f32 v[6:7], v[126:127], v[126:127]                // 00000000E4D8: D3B14006 1802FD7E
	v_pk_fma_f32 v[4:5], v[4:5], s[78:79], v[8:9]              // 00000000E4E0: D3B04004 1C209D04
	v_pk_fma_f32 v[6:7], v[6:7], s[78:79], v[8:9]              // 00000000E4E8: D3B04006 1C209D06
	v_pk_mul_f32 v[4:5], v[4:5], v[124:125]                    // 00000000E4F0: D3B14004 1802F904
	v_pk_mul_f32 v[6:7], v[6:7], v[126:127]                    // 00000000E4F8: D3B14006 1802FD06
	v_pk_mul_f32 v[4:5], v[4:5], s[60:61]                      // 00000000E500: D3B14004 18007904
	v_pk_mul_f32 v[6:7], v[6:7], s[60:61]                      // 00000000E508: D3B14006 18007906
	v_exp_f32_e32 v4, v4                                       // 00000000E510: 7E084104
	v_exp_f32_e32 v5, v5                                       // 00000000E514: 7E0A4105
	v_exp_f32_e32 v6, v6                                       // 00000000E518: 7E0C4106
	v_exp_f32_e32 v7, v7                                       // 00000000E51C: 7E0E4107
	v_add_f32_e64 v4, v4, 1.0                                  // 00000000E520: D1010004 0001E504
	v_add_f32_e64 v5, v5, 1.0                                  // 00000000E528: D1010005 0001E505
	v_add_f32_e64 v6, v6, 1.0                                  // 00000000E530: D1010006 0001E506
	v_add_f32_e64 v7, v7, 1.0                                  // 00000000E538: D1010007 0001E507
	v_rcp_f32_e32 v4, v4                                       // 00000000E540: 7E084504
	v_rcp_f32_e32 v5, v5                                       // 00000000E544: 7E0A4505
	v_rcp_f32_e32 v6, v6                                       // 00000000E548: 7E0C4506
	v_rcp_f32_e32 v7, v7                                       // 00000000E54C: 7E0E4507
	v_mul_f32_e32 v124, v124, v4                               // 00000000E550: 0AF8097C
	v_mul_f32_e32 v125, v125, v5                               // 00000000E554: 0AFA0B7D
	v_mul_f32_e32 v126, v126, v6                               // 00000000E558: 0AFC0D7E
	v_mul_f32_e32 v127, v127, v7                               // 00000000E55C: 0AFE0F7F
	v_mul_f32_e32 v124, v124, v204                             // 00000000E560: 0AF9997C
	v_mul_f32_e32 v125, v125, v205                             // 00000000E564: 0AFB9B7D
	v_mul_f32_e32 v126, v126, v206                             // 00000000E568: 0AFD9D7E
	v_mul_f32_e32 v127, v127, v207                             // 00000000E56C: 0AFF9F7F
	v_pk_mul_f32 v[4:5], v[128:129], v[128:129]                // 00000000E570: D3B14004 18030180
	v_pk_mul_f32 v[6:7], v[130:131], v[130:131]                // 00000000E578: D3B14006 18030582
	v_pk_fma_f32 v[4:5], v[4:5], s[78:79], v[8:9]              // 00000000E580: D3B04004 1C209D04
	v_pk_fma_f32 v[6:7], v[6:7], s[78:79], v[8:9]              // 00000000E588: D3B04006 1C209D06
	v_pk_mul_f32 v[4:5], v[4:5], v[128:129]                    // 00000000E590: D3B14004 18030104
	v_pk_mul_f32 v[6:7], v[6:7], v[130:131]                    // 00000000E598: D3B14006 18030506
	v_pk_mul_f32 v[4:5], v[4:5], s[60:61]                      // 00000000E5A0: D3B14004 18007904
	v_pk_mul_f32 v[6:7], v[6:7], s[60:61]                      // 00000000E5A8: D3B14006 18007906
	v_exp_f32_e32 v4, v4                                       // 00000000E5B0: 7E084104
	v_exp_f32_e32 v5, v5                                       // 00000000E5B4: 7E0A4105
	v_exp_f32_e32 v6, v6                                       // 00000000E5B8: 7E0C4106
	v_exp_f32_e32 v7, v7                                       // 00000000E5BC: 7E0E4107
	v_add_f32_e64 v4, v4, 1.0                                  // 00000000E5C0: D1010004 0001E504
	v_add_f32_e64 v5, v5, 1.0                                  // 00000000E5C8: D1010005 0001E505
	v_add_f32_e64 v6, v6, 1.0                                  // 00000000E5D0: D1010006 0001E506
	v_add_f32_e64 v7, v7, 1.0                                  // 00000000E5D8: D1010007 0001E507
	v_rcp_f32_e32 v4, v4                                       // 00000000E5E0: 7E084504
	v_rcp_f32_e32 v5, v5                                       // 00000000E5E4: 7E0A4505
	v_rcp_f32_e32 v6, v6                                       // 00000000E5E8: 7E0C4506
	v_rcp_f32_e32 v7, v7                                       // 00000000E5EC: 7E0E4507
	v_mul_f32_e32 v128, v128, v4                               // 00000000E5F0: 0B000980
	v_mul_f32_e32 v129, v129, v5                               // 00000000E5F4: 0B020B81
	v_mul_f32_e32 v130, v130, v6                               // 00000000E5F8: 0B040D82
	v_mul_f32_e32 v131, v131, v7                               // 00000000E5FC: 0B060F83
	v_mul_f32_e32 v128, v128, v208                             // 00000000E600: 0B01A180
	v_mul_f32_e32 v129, v129, v209                             // 00000000E604: 0B03A381
	v_mul_f32_e32 v130, v130, v210                             // 00000000E608: 0B05A582
	v_mul_f32_e32 v131, v131, v211                             // 00000000E60C: 0B07A783
	v_pk_mul_f32 v[4:5], v[132:133], v[132:133]                // 00000000E610: D3B14004 18030984
	v_pk_mul_f32 v[6:7], v[134:135], v[134:135]                // 00000000E618: D3B14006 18030D86
	v_pk_fma_f32 v[4:5], v[4:5], s[78:79], v[8:9]              // 00000000E620: D3B04004 1C209D04
	v_pk_fma_f32 v[6:7], v[6:7], s[78:79], v[8:9]              // 00000000E628: D3B04006 1C209D06
	v_pk_mul_f32 v[4:5], v[4:5], v[132:133]                    // 00000000E630: D3B14004 18030904
	v_pk_mul_f32 v[6:7], v[6:7], v[134:135]                    // 00000000E638: D3B14006 18030D06
	v_pk_mul_f32 v[4:5], v[4:5], s[60:61]                      // 00000000E640: D3B14004 18007904
	v_pk_mul_f32 v[6:7], v[6:7], s[60:61]                      // 00000000E648: D3B14006 18007906
	v_exp_f32_e32 v4, v4                                       // 00000000E650: 7E084104
	v_exp_f32_e32 v5, v5                                       // 00000000E654: 7E0A4105
	v_exp_f32_e32 v6, v6                                       // 00000000E658: 7E0C4106
	v_exp_f32_e32 v7, v7                                       // 00000000E65C: 7E0E4107
	v_add_f32_e64 v4, v4, 1.0                                  // 00000000E660: D1010004 0001E504
	v_add_f32_e64 v5, v5, 1.0                                  // 00000000E668: D1010005 0001E505
	v_add_f32_e64 v6, v6, 1.0                                  // 00000000E670: D1010006 0001E506
	v_add_f32_e64 v7, v7, 1.0                                  // 00000000E678: D1010007 0001E507
	v_rcp_f32_e32 v4, v4                                       // 00000000E680: 7E084504
	v_rcp_f32_e32 v5, v5                                       // 00000000E684: 7E0A4505
	v_rcp_f32_e32 v6, v6                                       // 00000000E688: 7E0C4506
	v_rcp_f32_e32 v7, v7                                       // 00000000E68C: 7E0E4507
	v_mul_f32_e32 v132, v132, v4                               // 00000000E690: 0B080984
	v_mul_f32_e32 v133, v133, v5                               // 00000000E694: 0B0A0B85
	v_mul_f32_e32 v134, v134, v6                               // 00000000E698: 0B0C0D86
	v_mul_f32_e32 v135, v135, v7                               // 00000000E69C: 0B0E0F87
	v_mul_f32_e32 v132, v132, v212                             // 00000000E6A0: 0B09A984
	v_mul_f32_e32 v133, v133, v213                             // 00000000E6A4: 0B0BAB85
	v_mul_f32_e32 v134, v134, v214                             // 00000000E6A8: 0B0DAD86
	v_mul_f32_e32 v135, v135, v215                             // 00000000E6AC: 0B0FAF87
	v_pk_mul_f32 v[4:5], v[136:137], v[136:137]                // 00000000E6B0: D3B14004 18031188
	v_pk_mul_f32 v[6:7], v[138:139], v[138:139]                // 00000000E6B8: D3B14006 1803158A
	v_pk_fma_f32 v[4:5], v[4:5], s[78:79], v[8:9]              // 00000000E6C0: D3B04004 1C209D04
	v_pk_fma_f32 v[6:7], v[6:7], s[78:79], v[8:9]              // 00000000E6C8: D3B04006 1C209D06
	v_pk_mul_f32 v[4:5], v[4:5], v[136:137]                    // 00000000E6D0: D3B14004 18031104
	v_pk_mul_f32 v[6:7], v[6:7], v[138:139]                    // 00000000E6D8: D3B14006 18031506
	v_pk_mul_f32 v[4:5], v[4:5], s[60:61]                      // 00000000E6E0: D3B14004 18007904
	v_pk_mul_f32 v[6:7], v[6:7], s[60:61]                      // 00000000E6E8: D3B14006 18007906
	v_exp_f32_e32 v4, v4                                       // 00000000E6F0: 7E084104
	v_exp_f32_e32 v5, v5                                       // 00000000E6F4: 7E0A4105
	v_exp_f32_e32 v6, v6                                       // 00000000E6F8: 7E0C4106
	v_exp_f32_e32 v7, v7                                       // 00000000E6FC: 7E0E4107
	v_add_f32_e64 v4, v4, 1.0                                  // 00000000E700: D1010004 0001E504
	v_add_f32_e64 v5, v5, 1.0                                  // 00000000E708: D1010005 0001E505
	v_add_f32_e64 v6, v6, 1.0                                  // 00000000E710: D1010006 0001E506
	v_add_f32_e64 v7, v7, 1.0                                  // 00000000E718: D1010007 0001E507
	v_rcp_f32_e32 v4, v4                                       // 00000000E720: 7E084504
	v_rcp_f32_e32 v5, v5                                       // 00000000E724: 7E0A4505
	v_rcp_f32_e32 v6, v6                                       // 00000000E728: 7E0C4506
	v_rcp_f32_e32 v7, v7                                       // 00000000E72C: 7E0E4507
	v_mul_f32_e32 v136, v136, v4                               // 00000000E730: 0B100988
	v_mul_f32_e32 v137, v137, v5                               // 00000000E734: 0B120B89
	v_mul_f32_e32 v138, v138, v6                               // 00000000E738: 0B140D8A
	v_mul_f32_e32 v139, v139, v7                               // 00000000E73C: 0B160F8B
	v_mul_f32_e32 v136, v136, v216                             // 00000000E740: 0B11B188
	v_mul_f32_e32 v137, v137, v217                             // 00000000E744: 0B13B389
	v_mul_f32_e32 v138, v138, v218                             // 00000000E748: 0B15B58A
	v_mul_f32_e32 v139, v139, v219                             // 00000000E74C: 0B17B78B
	v_pk_mul_f32 v[4:5], v[140:141], v[140:141]                // 00000000E750: D3B14004 1803198C
	v_pk_mul_f32 v[6:7], v[142:143], v[142:143]                // 00000000E758: D3B14006 18031D8E
	v_pk_fma_f32 v[4:5], v[4:5], s[78:79], v[8:9]              // 00000000E760: D3B04004 1C209D04
	v_pk_fma_f32 v[6:7], v[6:7], s[78:79], v[8:9]              // 00000000E768: D3B04006 1C209D06
	v_pk_mul_f32 v[4:5], v[4:5], v[140:141]                    // 00000000E770: D3B14004 18031904
	v_pk_mul_f32 v[6:7], v[6:7], v[142:143]                    // 00000000E778: D3B14006 18031D06
	v_pk_mul_f32 v[4:5], v[4:5], s[60:61]                      // 00000000E780: D3B14004 18007904
	v_pk_mul_f32 v[6:7], v[6:7], s[60:61]                      // 00000000E788: D3B14006 18007906
	v_exp_f32_e32 v4, v4                                       // 00000000E790: 7E084104
	v_exp_f32_e32 v5, v5                                       // 00000000E794: 7E0A4105
	v_exp_f32_e32 v6, v6                                       // 00000000E798: 7E0C4106
	v_exp_f32_e32 v7, v7                                       // 00000000E79C: 7E0E4107
	v_add_f32_e64 v4, v4, 1.0                                  // 00000000E7A0: D1010004 0001E504
	v_add_f32_e64 v5, v5, 1.0                                  // 00000000E7A8: D1010005 0001E505
	v_add_f32_e64 v6, v6, 1.0                                  // 00000000E7B0: D1010006 0001E506
	v_add_f32_e64 v7, v7, 1.0                                  // 00000000E7B8: D1010007 0001E507
	v_rcp_f32_e32 v4, v4                                       // 00000000E7C0: 7E084504
	v_rcp_f32_e32 v5, v5                                       // 00000000E7C4: 7E0A4505
	v_rcp_f32_e32 v6, v6                                       // 00000000E7C8: 7E0C4506
	v_rcp_f32_e32 v7, v7                                       // 00000000E7CC: 7E0E4507
	v_mul_f32_e32 v140, v140, v4                               // 00000000E7D0: 0B18098C
	v_mul_f32_e32 v141, v141, v5                               // 00000000E7D4: 0B1A0B8D
	v_mul_f32_e32 v142, v142, v6                               // 00000000E7D8: 0B1C0D8E
	v_mul_f32_e32 v143, v143, v7                               // 00000000E7DC: 0B1E0F8F
	v_mul_f32_e32 v140, v140, v220                             // 00000000E7E0: 0B19B98C
	v_mul_f32_e32 v141, v141, v221                             // 00000000E7E4: 0B1BBB8D
	v_mul_f32_e32 v142, v142, v222                             // 00000000E7E8: 0B1DBD8E
	v_mul_f32_e32 v143, v143, v223                             // 00000000E7EC: 0B1FBF8F
	s_branch label_3200                                        // 00000000E7F0: BF820280

000000000000e7f4 <label_2F80>:
	v_mul_f32_e64 v4, -v64, s6                                 // 00000000E7F4: D1050004 20000D40
	v_mul_f32_e64 v5, -v65, s6                                 // 00000000E7FC: D1050005 20000D41
	v_mul_f32_e64 v6, -v66, s6                                 // 00000000E804: D1050006 20000D42
	v_mul_f32_e64 v7, -v67, s6                                 // 00000000E80C: D1050007 20000D43
	v_exp_f32_e32 v4, v4                                       // 00000000E814: 7E084104
	v_exp_f32_e32 v5, v5                                       // 00000000E818: 7E0A4105
	v_exp_f32_e32 v6, v6                                       // 00000000E81C: 7E0C4106
	v_exp_f32_e32 v7, v7                                       // 00000000E820: 7E0E4107
	v_add_f32_e64 v4, v4, 1.0                                  // 00000000E824: D1010004 0001E504
	v_add_f32_e64 v5, v5, 1.0                                  // 00000000E82C: D1010005 0001E505
	v_add_f32_e64 v6, v6, 1.0                                  // 00000000E834: D1010006 0001E506
	v_add_f32_e64 v7, v7, 1.0                                  // 00000000E83C: D1010007 0001E507
	v_rcp_f32_e32 v4, v4                                       // 00000000E844: 7E084504
	v_rcp_f32_e32 v5, v5                                       // 00000000E848: 7E0A4505
	v_rcp_f32_e32 v6, v6                                       // 00000000E84C: 7E0C4506
	v_rcp_f32_e32 v7, v7                                       // 00000000E850: 7E0E4507
	v_mul_f32_e32 v64, v64, v4                                 // 00000000E854: 0A800940
	v_mul_f32_e32 v65, v65, v5                                 // 00000000E858: 0A820B41
	v_mul_f32_e32 v66, v66, v6                                 // 00000000E85C: 0A840D42
	v_mul_f32_e32 v67, v67, v7                                 // 00000000E860: 0A860F43
	v_mul_f32_e32 v64, v64, v144                               // 00000000E864: 0A812140
	v_mul_f32_e32 v65, v65, v145                               // 00000000E868: 0A832341
	v_mul_f32_e32 v66, v66, v146                               // 00000000E86C: 0A852542
	v_mul_f32_e32 v67, v67, v147                               // 00000000E870: 0A872743
	v_mul_f32_e64 v4, -v68, s6                                 // 00000000E874: D1050004 20000D44
	v_mul_f32_e64 v5, -v69, s6                                 // 00000000E87C: D1050005 20000D45
	v_mul_f32_e64 v6, -v70, s6                                 // 00000000E884: D1050006 20000D46
	v_mul_f32_e64 v7, -v71, s6                                 // 00000000E88C: D1050007 20000D47
	v_exp_f32_e32 v4, v4                                       // 00000000E894: 7E084104
	v_exp_f32_e32 v5, v5                                       // 00000000E898: 7E0A4105
	v_exp_f32_e32 v6, v6                                       // 00000000E89C: 7E0C4106
	v_exp_f32_e32 v7, v7                                       // 00000000E8A0: 7E0E4107
	v_add_f32_e64 v4, v4, 1.0                                  // 00000000E8A4: D1010004 0001E504
	v_add_f32_e64 v5, v5, 1.0                                  // 00000000E8AC: D1010005 0001E505
	v_add_f32_e64 v6, v6, 1.0                                  // 00000000E8B4: D1010006 0001E506
	v_add_f32_e64 v7, v7, 1.0                                  // 00000000E8BC: D1010007 0001E507
	v_rcp_f32_e32 v4, v4                                       // 00000000E8C4: 7E084504
	v_rcp_f32_e32 v5, v5                                       // 00000000E8C8: 7E0A4505
	v_rcp_f32_e32 v6, v6                                       // 00000000E8CC: 7E0C4506
	v_rcp_f32_e32 v7, v7                                       // 00000000E8D0: 7E0E4507
	v_mul_f32_e32 v68, v68, v4                                 // 00000000E8D4: 0A880944
	v_mul_f32_e32 v69, v69, v5                                 // 00000000E8D8: 0A8A0B45
	v_mul_f32_e32 v70, v70, v6                                 // 00000000E8DC: 0A8C0D46
	v_mul_f32_e32 v71, v71, v7                                 // 00000000E8E0: 0A8E0F47
	v_mul_f32_e32 v68, v68, v148                               // 00000000E8E4: 0A892944
	v_mul_f32_e32 v69, v69, v149                               // 00000000E8E8: 0A8B2B45
	v_mul_f32_e32 v70, v70, v150                               // 00000000E8EC: 0A8D2D46
	v_mul_f32_e32 v71, v71, v151                               // 00000000E8F0: 0A8F2F47
	v_mul_f32_e64 v4, -v72, s6                                 // 00000000E8F4: D1050004 20000D48
	v_mul_f32_e64 v5, -v73, s6                                 // 00000000E8FC: D1050005 20000D49
	v_mul_f32_e64 v6, -v74, s6                                 // 00000000E904: D1050006 20000D4A
	v_mul_f32_e64 v7, -v75, s6                                 // 00000000E90C: D1050007 20000D4B
	v_exp_f32_e32 v4, v4                                       // 00000000E914: 7E084104
	v_exp_f32_e32 v5, v5                                       // 00000000E918: 7E0A4105
	v_exp_f32_e32 v6, v6                                       // 00000000E91C: 7E0C4106
	v_exp_f32_e32 v7, v7                                       // 00000000E920: 7E0E4107
	v_add_f32_e64 v4, v4, 1.0                                  // 00000000E924: D1010004 0001E504
	v_add_f32_e64 v5, v5, 1.0                                  // 00000000E92C: D1010005 0001E505
	v_add_f32_e64 v6, v6, 1.0                                  // 00000000E934: D1010006 0001E506
	v_add_f32_e64 v7, v7, 1.0                                  // 00000000E93C: D1010007 0001E507
	v_rcp_f32_e32 v4, v4                                       // 00000000E944: 7E084504
	v_rcp_f32_e32 v5, v5                                       // 00000000E948: 7E0A4505
	v_rcp_f32_e32 v6, v6                                       // 00000000E94C: 7E0C4506
	v_rcp_f32_e32 v7, v7                                       // 00000000E950: 7E0E4507
	v_mul_f32_e32 v72, v72, v4                                 // 00000000E954: 0A900948
	v_mul_f32_e32 v73, v73, v5                                 // 00000000E958: 0A920B49
	v_mul_f32_e32 v74, v74, v6                                 // 00000000E95C: 0A940D4A
	v_mul_f32_e32 v75, v75, v7                                 // 00000000E960: 0A960F4B
	v_mul_f32_e32 v72, v72, v152                               // 00000000E964: 0A913148
	v_mul_f32_e32 v73, v73, v153                               // 00000000E968: 0A933349
	v_mul_f32_e32 v74, v74, v154                               // 00000000E96C: 0A95354A
	v_mul_f32_e32 v75, v75, v155                               // 00000000E970: 0A97374B
	v_mul_f32_e64 v4, -v76, s6                                 // 00000000E974: D1050004 20000D4C
	v_mul_f32_e64 v5, -v77, s6                                 // 00000000E97C: D1050005 20000D4D
	v_mul_f32_e64 v6, -v78, s6                                 // 00000000E984: D1050006 20000D4E
	v_mul_f32_e64 v7, -v79, s6                                 // 00000000E98C: D1050007 20000D4F
	v_exp_f32_e32 v4, v4                                       // 00000000E994: 7E084104
	v_exp_f32_e32 v5, v5                                       // 00000000E998: 7E0A4105
	v_exp_f32_e32 v6, v6                                       // 00000000E99C: 7E0C4106
	v_exp_f32_e32 v7, v7                                       // 00000000E9A0: 7E0E4107
	v_add_f32_e64 v4, v4, 1.0                                  // 00000000E9A4: D1010004 0001E504
	v_add_f32_e64 v5, v5, 1.0                                  // 00000000E9AC: D1010005 0001E505
	v_add_f32_e64 v6, v6, 1.0                                  // 00000000E9B4: D1010006 0001E506
	v_add_f32_e64 v7, v7, 1.0                                  // 00000000E9BC: D1010007 0001E507
	v_rcp_f32_e32 v4, v4                                       // 00000000E9C4: 7E084504
	v_rcp_f32_e32 v5, v5                                       // 00000000E9C8: 7E0A4505
	v_rcp_f32_e32 v6, v6                                       // 00000000E9CC: 7E0C4506
	v_rcp_f32_e32 v7, v7                                       // 00000000E9D0: 7E0E4507
	v_mul_f32_e32 v76, v76, v4                                 // 00000000E9D4: 0A98094C
	v_mul_f32_e32 v77, v77, v5                                 // 00000000E9D8: 0A9A0B4D
	v_mul_f32_e32 v78, v78, v6                                 // 00000000E9DC: 0A9C0D4E
	v_mul_f32_e32 v79, v79, v7                                 // 00000000E9E0: 0A9E0F4F
	v_mul_f32_e32 v76, v76, v156                               // 00000000E9E4: 0A99394C
	v_mul_f32_e32 v77, v77, v157                               // 00000000E9E8: 0A9B3B4D
	v_mul_f32_e32 v78, v78, v158                               // 00000000E9EC: 0A9D3D4E
	v_mul_f32_e32 v79, v79, v159                               // 00000000E9F0: 0A9F3F4F
	v_mul_f32_e64 v4, -v80, s6                                 // 00000000E9F4: D1050004 20000D50
	v_mul_f32_e64 v5, -v81, s6                                 // 00000000E9FC: D1050005 20000D51
	v_mul_f32_e64 v6, -v82, s6                                 // 00000000EA04: D1050006 20000D52
	v_mul_f32_e64 v7, -v83, s6                                 // 00000000EA0C: D1050007 20000D53
	v_exp_f32_e32 v4, v4                                       // 00000000EA14: 7E084104
	v_exp_f32_e32 v5, v5                                       // 00000000EA18: 7E0A4105
	v_exp_f32_e32 v6, v6                                       // 00000000EA1C: 7E0C4106
	v_exp_f32_e32 v7, v7                                       // 00000000EA20: 7E0E4107
	v_add_f32_e64 v4, v4, 1.0                                  // 00000000EA24: D1010004 0001E504
	v_add_f32_e64 v5, v5, 1.0                                  // 00000000EA2C: D1010005 0001E505
	v_add_f32_e64 v6, v6, 1.0                                  // 00000000EA34: D1010006 0001E506
	v_add_f32_e64 v7, v7, 1.0                                  // 00000000EA3C: D1010007 0001E507
	v_rcp_f32_e32 v4, v4                                       // 00000000EA44: 7E084504
	v_rcp_f32_e32 v5, v5                                       // 00000000EA48: 7E0A4505
	v_rcp_f32_e32 v6, v6                                       // 00000000EA4C: 7E0C4506
	v_rcp_f32_e32 v7, v7                                       // 00000000EA50: 7E0E4507
	v_mul_f32_e32 v80, v80, v4                                 // 00000000EA54: 0AA00950
	v_mul_f32_e32 v81, v81, v5                                 // 00000000EA58: 0AA20B51
	v_mul_f32_e32 v82, v82, v6                                 // 00000000EA5C: 0AA40D52
	v_mul_f32_e32 v83, v83, v7                                 // 00000000EA60: 0AA60F53
	v_mul_f32_e32 v80, v80, v160                               // 00000000EA64: 0AA14150
	v_mul_f32_e32 v81, v81, v161                               // 00000000EA68: 0AA34351
	v_mul_f32_e32 v82, v82, v162                               // 00000000EA6C: 0AA54552
	v_mul_f32_e32 v83, v83, v163                               // 00000000EA70: 0AA74753
	v_mul_f32_e64 v4, -v84, s6                                 // 00000000EA74: D1050004 20000D54
	v_mul_f32_e64 v5, -v85, s6                                 // 00000000EA7C: D1050005 20000D55
	v_mul_f32_e64 v6, -v86, s6                                 // 00000000EA84: D1050006 20000D56
	v_mul_f32_e64 v7, -v87, s6                                 // 00000000EA8C: D1050007 20000D57
	v_exp_f32_e32 v4, v4                                       // 00000000EA94: 7E084104
	v_exp_f32_e32 v5, v5                                       // 00000000EA98: 7E0A4105
	v_exp_f32_e32 v6, v6                                       // 00000000EA9C: 7E0C4106
	v_exp_f32_e32 v7, v7                                       // 00000000EAA0: 7E0E4107
	v_add_f32_e64 v4, v4, 1.0                                  // 00000000EAA4: D1010004 0001E504
	v_add_f32_e64 v5, v5, 1.0                                  // 00000000EAAC: D1010005 0001E505
	v_add_f32_e64 v6, v6, 1.0                                  // 00000000EAB4: D1010006 0001E506
	v_add_f32_e64 v7, v7, 1.0                                  // 00000000EABC: D1010007 0001E507
	v_rcp_f32_e32 v4, v4                                       // 00000000EAC4: 7E084504
	v_rcp_f32_e32 v5, v5                                       // 00000000EAC8: 7E0A4505
	v_rcp_f32_e32 v6, v6                                       // 00000000EACC: 7E0C4506
	v_rcp_f32_e32 v7, v7                                       // 00000000EAD0: 7E0E4507
	v_mul_f32_e32 v84, v84, v4                                 // 00000000EAD4: 0AA80954
	v_mul_f32_e32 v85, v85, v5                                 // 00000000EAD8: 0AAA0B55
	v_mul_f32_e32 v86, v86, v6                                 // 00000000EADC: 0AAC0D56
	v_mul_f32_e32 v87, v87, v7                                 // 00000000EAE0: 0AAE0F57
	v_mul_f32_e32 v84, v84, v164                               // 00000000EAE4: 0AA94954
	v_mul_f32_e32 v85, v85, v165                               // 00000000EAE8: 0AAB4B55
	v_mul_f32_e32 v86, v86, v166                               // 00000000EAEC: 0AAD4D56
	v_mul_f32_e32 v87, v87, v167                               // 00000000EAF0: 0AAF4F57
	v_mul_f32_e64 v4, -v88, s6                                 // 00000000EAF4: D1050004 20000D58
	v_mul_f32_e64 v5, -v89, s6                                 // 00000000EAFC: D1050005 20000D59
	v_mul_f32_e64 v6, -v90, s6                                 // 00000000EB04: D1050006 20000D5A
	v_mul_f32_e64 v7, -v91, s6                                 // 00000000EB0C: D1050007 20000D5B
	v_exp_f32_e32 v4, v4                                       // 00000000EB14: 7E084104
	v_exp_f32_e32 v5, v5                                       // 00000000EB18: 7E0A4105
	v_exp_f32_e32 v6, v6                                       // 00000000EB1C: 7E0C4106
	v_exp_f32_e32 v7, v7                                       // 00000000EB20: 7E0E4107
	v_add_f32_e64 v4, v4, 1.0                                  // 00000000EB24: D1010004 0001E504
	v_add_f32_e64 v5, v5, 1.0                                  // 00000000EB2C: D1010005 0001E505
	v_add_f32_e64 v6, v6, 1.0                                  // 00000000EB34: D1010006 0001E506
	v_add_f32_e64 v7, v7, 1.0                                  // 00000000EB3C: D1010007 0001E507
	v_rcp_f32_e32 v4, v4                                       // 00000000EB44: 7E084504
	v_rcp_f32_e32 v5, v5                                       // 00000000EB48: 7E0A4505
	v_rcp_f32_e32 v6, v6                                       // 00000000EB4C: 7E0C4506
	v_rcp_f32_e32 v7, v7                                       // 00000000EB50: 7E0E4507
	v_mul_f32_e32 v88, v88, v4                                 // 00000000EB54: 0AB00958
	v_mul_f32_e32 v89, v89, v5                                 // 00000000EB58: 0AB20B59
	v_mul_f32_e32 v90, v90, v6                                 // 00000000EB5C: 0AB40D5A
	v_mul_f32_e32 v91, v91, v7                                 // 00000000EB60: 0AB60F5B
	v_mul_f32_e32 v88, v88, v168                               // 00000000EB64: 0AB15158
	v_mul_f32_e32 v89, v89, v169                               // 00000000EB68: 0AB35359
	v_mul_f32_e32 v90, v90, v170                               // 00000000EB6C: 0AB5555A
	v_mul_f32_e32 v91, v91, v171                               // 00000000EB70: 0AB7575B
	v_mul_f32_e64 v4, -v92, s6                                 // 00000000EB74: D1050004 20000D5C
	v_mul_f32_e64 v5, -v93, s6                                 // 00000000EB7C: D1050005 20000D5D
	v_mul_f32_e64 v6, -v94, s6                                 // 00000000EB84: D1050006 20000D5E
	v_mul_f32_e64 v7, -v95, s6                                 // 00000000EB8C: D1050007 20000D5F
	v_exp_f32_e32 v4, v4                                       // 00000000EB94: 7E084104
	v_exp_f32_e32 v5, v5                                       // 00000000EB98: 7E0A4105
	v_exp_f32_e32 v6, v6                                       // 00000000EB9C: 7E0C4106
	v_exp_f32_e32 v7, v7                                       // 00000000EBA0: 7E0E4107
	v_add_f32_e64 v4, v4, 1.0                                  // 00000000EBA4: D1010004 0001E504
	v_add_f32_e64 v5, v5, 1.0                                  // 00000000EBAC: D1010005 0001E505
	v_add_f32_e64 v6, v6, 1.0                                  // 00000000EBB4: D1010006 0001E506
	v_add_f32_e64 v7, v7, 1.0                                  // 00000000EBBC: D1010007 0001E507
	v_rcp_f32_e32 v4, v4                                       // 00000000EBC4: 7E084504
	v_rcp_f32_e32 v5, v5                                       // 00000000EBC8: 7E0A4505
	v_rcp_f32_e32 v6, v6                                       // 00000000EBCC: 7E0C4506
	v_rcp_f32_e32 v7, v7                                       // 00000000EBD0: 7E0E4507
	v_mul_f32_e32 v92, v92, v4                                 // 00000000EBD4: 0AB8095C
	v_mul_f32_e32 v93, v93, v5                                 // 00000000EBD8: 0ABA0B5D
	v_mul_f32_e32 v94, v94, v6                                 // 00000000EBDC: 0ABC0D5E
	v_mul_f32_e32 v95, v95, v7                                 // 00000000EBE0: 0ABE0F5F
	v_mul_f32_e32 v92, v92, v172                               // 00000000EBE4: 0AB9595C
	v_mul_f32_e32 v93, v93, v173                               // 00000000EBE8: 0ABB5B5D
	v_mul_f32_e32 v94, v94, v174                               // 00000000EBEC: 0ABD5D5E
	v_mul_f32_e32 v95, v95, v175                               // 00000000EBF0: 0ABF5F5F
	v_mul_f32_e64 v4, -v96, s6                                 // 00000000EBF4: D1050004 20000D60
	v_mul_f32_e64 v5, -v97, s6                                 // 00000000EBFC: D1050005 20000D61
	v_mul_f32_e64 v6, -v98, s6                                 // 00000000EC04: D1050006 20000D62
	v_mul_f32_e64 v7, -v99, s6                                 // 00000000EC0C: D1050007 20000D63
	v_exp_f32_e32 v4, v4                                       // 00000000EC14: 7E084104
	v_exp_f32_e32 v5, v5                                       // 00000000EC18: 7E0A4105
	v_exp_f32_e32 v6, v6                                       // 00000000EC1C: 7E0C4106
	v_exp_f32_e32 v7, v7                                       // 00000000EC20: 7E0E4107
	v_add_f32_e64 v4, v4, 1.0                                  // 00000000EC24: D1010004 0001E504
	v_add_f32_e64 v5, v5, 1.0                                  // 00000000EC2C: D1010005 0001E505
	v_add_f32_e64 v6, v6, 1.0                                  // 00000000EC34: D1010006 0001E506
	v_add_f32_e64 v7, v7, 1.0                                  // 00000000EC3C: D1010007 0001E507
	v_rcp_f32_e32 v4, v4                                       // 00000000EC44: 7E084504
	v_rcp_f32_e32 v5, v5                                       // 00000000EC48: 7E0A4505
	v_rcp_f32_e32 v6, v6                                       // 00000000EC4C: 7E0C4506
	v_rcp_f32_e32 v7, v7                                       // 00000000EC50: 7E0E4507
	v_mul_f32_e32 v96, v96, v4                                 // 00000000EC54: 0AC00960
	v_mul_f32_e32 v97, v97, v5                                 // 00000000EC58: 0AC20B61
	v_mul_f32_e32 v98, v98, v6                                 // 00000000EC5C: 0AC40D62
	v_mul_f32_e32 v99, v99, v7                                 // 00000000EC60: 0AC60F63
	v_mul_f32_e32 v96, v96, v176                               // 00000000EC64: 0AC16160
	v_mul_f32_e32 v97, v97, v177                               // 00000000EC68: 0AC36361
	v_mul_f32_e32 v98, v98, v178                               // 00000000EC6C: 0AC56562
	v_mul_f32_e32 v99, v99, v179                               // 00000000EC70: 0AC76763
	v_mul_f32_e64 v4, -v100, s6                                // 00000000EC74: D1050004 20000D64
	v_mul_f32_e64 v5, -v101, s6                                // 00000000EC7C: D1050005 20000D65
	v_mul_f32_e64 v6, -v102, s6                                // 00000000EC84: D1050006 20000D66
	v_mul_f32_e64 v7, -v103, s6                                // 00000000EC8C: D1050007 20000D67
	v_exp_f32_e32 v4, v4                                       // 00000000EC94: 7E084104
	v_exp_f32_e32 v5, v5                                       // 00000000EC98: 7E0A4105
	v_exp_f32_e32 v6, v6                                       // 00000000EC9C: 7E0C4106
	v_exp_f32_e32 v7, v7                                       // 00000000ECA0: 7E0E4107
	v_add_f32_e64 v4, v4, 1.0                                  // 00000000ECA4: D1010004 0001E504
	v_add_f32_e64 v5, v5, 1.0                                  // 00000000ECAC: D1010005 0001E505
	v_add_f32_e64 v6, v6, 1.0                                  // 00000000ECB4: D1010006 0001E506
	v_add_f32_e64 v7, v7, 1.0                                  // 00000000ECBC: D1010007 0001E507
	v_rcp_f32_e32 v4, v4                                       // 00000000ECC4: 7E084504
	v_rcp_f32_e32 v5, v5                                       // 00000000ECC8: 7E0A4505
	v_rcp_f32_e32 v6, v6                                       // 00000000ECCC: 7E0C4506
	v_rcp_f32_e32 v7, v7                                       // 00000000ECD0: 7E0E4507
	v_mul_f32_e32 v100, v100, v4                               // 00000000ECD4: 0AC80964
	v_mul_f32_e32 v101, v101, v5                               // 00000000ECD8: 0ACA0B65
	v_mul_f32_e32 v102, v102, v6                               // 00000000ECDC: 0ACC0D66
	v_mul_f32_e32 v103, v103, v7                               // 00000000ECE0: 0ACE0F67
	v_mul_f32_e32 v100, v100, v180                             // 00000000ECE4: 0AC96964
	v_mul_f32_e32 v101, v101, v181                             // 00000000ECE8: 0ACB6B65
	v_mul_f32_e32 v102, v102, v182                             // 00000000ECEC: 0ACD6D66
	v_mul_f32_e32 v103, v103, v183                             // 00000000ECF0: 0ACF6F67
	v_mul_f32_e64 v4, -v104, s6                                // 00000000ECF4: D1050004 20000D68
	v_mul_f32_e64 v5, -v105, s6                                // 00000000ECFC: D1050005 20000D69
	v_mul_f32_e64 v6, -v106, s6                                // 00000000ED04: D1050006 20000D6A
	v_mul_f32_e64 v7, -v107, s6                                // 00000000ED0C: D1050007 20000D6B
	v_exp_f32_e32 v4, v4                                       // 00000000ED14: 7E084104
	v_exp_f32_e32 v5, v5                                       // 00000000ED18: 7E0A4105
	v_exp_f32_e32 v6, v6                                       // 00000000ED1C: 7E0C4106
	v_exp_f32_e32 v7, v7                                       // 00000000ED20: 7E0E4107
	v_add_f32_e64 v4, v4, 1.0                                  // 00000000ED24: D1010004 0001E504
	v_add_f32_e64 v5, v5, 1.0                                  // 00000000ED2C: D1010005 0001E505
	v_add_f32_e64 v6, v6, 1.0                                  // 00000000ED34: D1010006 0001E506
	v_add_f32_e64 v7, v7, 1.0                                  // 00000000ED3C: D1010007 0001E507
	v_rcp_f32_e32 v4, v4                                       // 00000000ED44: 7E084504
	v_rcp_f32_e32 v5, v5                                       // 00000000ED48: 7E0A4505
	v_rcp_f32_e32 v6, v6                                       // 00000000ED4C: 7E0C4506
	v_rcp_f32_e32 v7, v7                                       // 00000000ED50: 7E0E4507
	v_mul_f32_e32 v104, v104, v4                               // 00000000ED54: 0AD00968
	v_mul_f32_e32 v105, v105, v5                               // 00000000ED58: 0AD20B69
	v_mul_f32_e32 v106, v106, v6                               // 00000000ED5C: 0AD40D6A
	v_mul_f32_e32 v107, v107, v7                               // 00000000ED60: 0AD60F6B
	v_mul_f32_e32 v104, v104, v184                             // 00000000ED64: 0AD17168
	v_mul_f32_e32 v105, v105, v185                             // 00000000ED68: 0AD37369
	v_mul_f32_e32 v106, v106, v186                             // 00000000ED6C: 0AD5756A
	v_mul_f32_e32 v107, v107, v187                             // 00000000ED70: 0AD7776B
	v_mul_f32_e64 v4, -v108, s6                                // 00000000ED74: D1050004 20000D6C
	v_mul_f32_e64 v5, -v109, s6                                // 00000000ED7C: D1050005 20000D6D
	v_mul_f32_e64 v6, -v110, s6                                // 00000000ED84: D1050006 20000D6E
	v_mul_f32_e64 v7, -v111, s6                                // 00000000ED8C: D1050007 20000D6F
	v_exp_f32_e32 v4, v4                                       // 00000000ED94: 7E084104
	v_exp_f32_e32 v5, v5                                       // 00000000ED98: 7E0A4105
	v_exp_f32_e32 v6, v6                                       // 00000000ED9C: 7E0C4106
	v_exp_f32_e32 v7, v7                                       // 00000000EDA0: 7E0E4107
	v_add_f32_e64 v4, v4, 1.0                                  // 00000000EDA4: D1010004 0001E504
	v_add_f32_e64 v5, v5, 1.0                                  // 00000000EDAC: D1010005 0001E505
	v_add_f32_e64 v6, v6, 1.0                                  // 00000000EDB4: D1010006 0001E506
	v_add_f32_e64 v7, v7, 1.0                                  // 00000000EDBC: D1010007 0001E507
	v_rcp_f32_e32 v4, v4                                       // 00000000EDC4: 7E084504
	v_rcp_f32_e32 v5, v5                                       // 00000000EDC8: 7E0A4505
	v_rcp_f32_e32 v6, v6                                       // 00000000EDCC: 7E0C4506
	v_rcp_f32_e32 v7, v7                                       // 00000000EDD0: 7E0E4507
	v_mul_f32_e32 v108, v108, v4                               // 00000000EDD4: 0AD8096C
	v_mul_f32_e32 v109, v109, v5                               // 00000000EDD8: 0ADA0B6D
	v_mul_f32_e32 v110, v110, v6                               // 00000000EDDC: 0ADC0D6E
	v_mul_f32_e32 v111, v111, v7                               // 00000000EDE0: 0ADE0F6F
	v_mul_f32_e32 v108, v108, v188                             // 00000000EDE4: 0AD9796C
	v_mul_f32_e32 v109, v109, v189                             // 00000000EDE8: 0ADB7B6D
	v_mul_f32_e32 v110, v110, v190                             // 00000000EDEC: 0ADD7D6E
	v_mul_f32_e32 v111, v111, v191                             // 00000000EDF0: 0ADF7F6F
	v_mul_f32_e64 v4, -v112, s6                                // 00000000EDF4: D1050004 20000D70
	v_mul_f32_e64 v5, -v113, s6                                // 00000000EDFC: D1050005 20000D71
	v_mul_f32_e64 v6, -v114, s6                                // 00000000EE04: D1050006 20000D72
	v_mul_f32_e64 v7, -v115, s6                                // 00000000EE0C: D1050007 20000D73
	v_exp_f32_e32 v4, v4                                       // 00000000EE14: 7E084104
	v_exp_f32_e32 v5, v5                                       // 00000000EE18: 7E0A4105
	v_exp_f32_e32 v6, v6                                       // 00000000EE1C: 7E0C4106
	v_exp_f32_e32 v7, v7                                       // 00000000EE20: 7E0E4107
	v_add_f32_e64 v4, v4, 1.0                                  // 00000000EE24: D1010004 0001E504
	v_add_f32_e64 v5, v5, 1.0                                  // 00000000EE2C: D1010005 0001E505
	v_add_f32_e64 v6, v6, 1.0                                  // 00000000EE34: D1010006 0001E506
	v_add_f32_e64 v7, v7, 1.0                                  // 00000000EE3C: D1010007 0001E507
	v_rcp_f32_e32 v4, v4                                       // 00000000EE44: 7E084504
	v_rcp_f32_e32 v5, v5                                       // 00000000EE48: 7E0A4505
	v_rcp_f32_e32 v6, v6                                       // 00000000EE4C: 7E0C4506
	v_rcp_f32_e32 v7, v7                                       // 00000000EE50: 7E0E4507
	v_mul_f32_e32 v112, v112, v4                               // 00000000EE54: 0AE00970
	v_mul_f32_e32 v113, v113, v5                               // 00000000EE58: 0AE20B71
	v_mul_f32_e32 v114, v114, v6                               // 00000000EE5C: 0AE40D72
	v_mul_f32_e32 v115, v115, v7                               // 00000000EE60: 0AE60F73
	v_mul_f32_e32 v112, v112, v192                             // 00000000EE64: 0AE18170
	v_mul_f32_e32 v113, v113, v193                             // 00000000EE68: 0AE38371
	v_mul_f32_e32 v114, v114, v194                             // 00000000EE6C: 0AE58572
	v_mul_f32_e32 v115, v115, v195                             // 00000000EE70: 0AE78773
	v_mul_f32_e64 v4, -v116, s6                                // 00000000EE74: D1050004 20000D74
	v_mul_f32_e64 v5, -v117, s6                                // 00000000EE7C: D1050005 20000D75
	v_mul_f32_e64 v6, -v118, s6                                // 00000000EE84: D1050006 20000D76
	v_mul_f32_e64 v7, -v119, s6                                // 00000000EE8C: D1050007 20000D77
	v_exp_f32_e32 v4, v4                                       // 00000000EE94: 7E084104
	v_exp_f32_e32 v5, v5                                       // 00000000EE98: 7E0A4105
	v_exp_f32_e32 v6, v6                                       // 00000000EE9C: 7E0C4106
	v_exp_f32_e32 v7, v7                                       // 00000000EEA0: 7E0E4107
	v_add_f32_e64 v4, v4, 1.0                                  // 00000000EEA4: D1010004 0001E504
	v_add_f32_e64 v5, v5, 1.0                                  // 00000000EEAC: D1010005 0001E505
	v_add_f32_e64 v6, v6, 1.0                                  // 00000000EEB4: D1010006 0001E506
	v_add_f32_e64 v7, v7, 1.0                                  // 00000000EEBC: D1010007 0001E507
	v_rcp_f32_e32 v4, v4                                       // 00000000EEC4: 7E084504
	v_rcp_f32_e32 v5, v5                                       // 00000000EEC8: 7E0A4505
	v_rcp_f32_e32 v6, v6                                       // 00000000EECC: 7E0C4506
	v_rcp_f32_e32 v7, v7                                       // 00000000EED0: 7E0E4507
	v_mul_f32_e32 v116, v116, v4                               // 00000000EED4: 0AE80974
	v_mul_f32_e32 v117, v117, v5                               // 00000000EED8: 0AEA0B75
	v_mul_f32_e32 v118, v118, v6                               // 00000000EEDC: 0AEC0D76
	v_mul_f32_e32 v119, v119, v7                               // 00000000EEE0: 0AEE0F77
	v_mul_f32_e32 v116, v116, v196                             // 00000000EEE4: 0AE98974
	v_mul_f32_e32 v117, v117, v197                             // 00000000EEE8: 0AEB8B75
	v_mul_f32_e32 v118, v118, v198                             // 00000000EEEC: 0AED8D76
	v_mul_f32_e32 v119, v119, v199                             // 00000000EEF0: 0AEF8F77
	v_mul_f32_e64 v4, -v120, s6                                // 00000000EEF4: D1050004 20000D78
	v_mul_f32_e64 v5, -v121, s6                                // 00000000EEFC: D1050005 20000D79
	v_mul_f32_e64 v6, -v122, s6                                // 00000000EF04: D1050006 20000D7A
	v_mul_f32_e64 v7, -v123, s6                                // 00000000EF0C: D1050007 20000D7B
	v_exp_f32_e32 v4, v4                                       // 00000000EF14: 7E084104
	v_exp_f32_e32 v5, v5                                       // 00000000EF18: 7E0A4105
	v_exp_f32_e32 v6, v6                                       // 00000000EF1C: 7E0C4106
	v_exp_f32_e32 v7, v7                                       // 00000000EF20: 7E0E4107
	v_add_f32_e64 v4, v4, 1.0                                  // 00000000EF24: D1010004 0001E504
	v_add_f32_e64 v5, v5, 1.0                                  // 00000000EF2C: D1010005 0001E505
	v_add_f32_e64 v6, v6, 1.0                                  // 00000000EF34: D1010006 0001E506
	v_add_f32_e64 v7, v7, 1.0                                  // 00000000EF3C: D1010007 0001E507
	v_rcp_f32_e32 v4, v4                                       // 00000000EF44: 7E084504
	v_rcp_f32_e32 v5, v5                                       // 00000000EF48: 7E0A4505
	v_rcp_f32_e32 v6, v6                                       // 00000000EF4C: 7E0C4506
	v_rcp_f32_e32 v7, v7                                       // 00000000EF50: 7E0E4507
	v_mul_f32_e32 v120, v120, v4                               // 00000000EF54: 0AF00978
	v_mul_f32_e32 v121, v121, v5                               // 00000000EF58: 0AF20B79
	v_mul_f32_e32 v122, v122, v6                               // 00000000EF5C: 0AF40D7A
	v_mul_f32_e32 v123, v123, v7                               // 00000000EF60: 0AF60F7B
	v_mul_f32_e32 v120, v120, v200                             // 00000000EF64: 0AF19178
	v_mul_f32_e32 v121, v121, v201                             // 00000000EF68: 0AF39379
	v_mul_f32_e32 v122, v122, v202                             // 00000000EF6C: 0AF5957A
	v_mul_f32_e32 v123, v123, v203                             // 00000000EF70: 0AF7977B
	v_mul_f32_e64 v4, -v124, s6                                // 00000000EF74: D1050004 20000D7C
	v_mul_f32_e64 v5, -v125, s6                                // 00000000EF7C: D1050005 20000D7D
	v_mul_f32_e64 v6, -v126, s6                                // 00000000EF84: D1050006 20000D7E
	v_mul_f32_e64 v7, -v127, s6                                // 00000000EF8C: D1050007 20000D7F
	v_exp_f32_e32 v4, v4                                       // 00000000EF94: 7E084104
	v_exp_f32_e32 v5, v5                                       // 00000000EF98: 7E0A4105
	v_exp_f32_e32 v6, v6                                       // 00000000EF9C: 7E0C4106
	v_exp_f32_e32 v7, v7                                       // 00000000EFA0: 7E0E4107
	v_add_f32_e64 v4, v4, 1.0                                  // 00000000EFA4: D1010004 0001E504
	v_add_f32_e64 v5, v5, 1.0                                  // 00000000EFAC: D1010005 0001E505
	v_add_f32_e64 v6, v6, 1.0                                  // 00000000EFB4: D1010006 0001E506
	v_add_f32_e64 v7, v7, 1.0                                  // 00000000EFBC: D1010007 0001E507
	v_rcp_f32_e32 v4, v4                                       // 00000000EFC4: 7E084504
	v_rcp_f32_e32 v5, v5                                       // 00000000EFC8: 7E0A4505
	v_rcp_f32_e32 v6, v6                                       // 00000000EFCC: 7E0C4506
	v_rcp_f32_e32 v7, v7                                       // 00000000EFD0: 7E0E4507
	v_mul_f32_e32 v124, v124, v4                               // 00000000EFD4: 0AF8097C
	v_mul_f32_e32 v125, v125, v5                               // 00000000EFD8: 0AFA0B7D
	v_mul_f32_e32 v126, v126, v6                               // 00000000EFDC: 0AFC0D7E
	v_mul_f32_e32 v127, v127, v7                               // 00000000EFE0: 0AFE0F7F
	v_mul_f32_e32 v124, v124, v204                             // 00000000EFE4: 0AF9997C
	v_mul_f32_e32 v125, v125, v205                             // 00000000EFE8: 0AFB9B7D
	v_mul_f32_e32 v126, v126, v206                             // 00000000EFEC: 0AFD9D7E
	v_mul_f32_e32 v127, v127, v207                             // 00000000EFF0: 0AFF9F7F
	v_mul_f32_e64 v4, -v128, s6                                // 00000000EFF4: D1050004 20000D80
	v_mul_f32_e64 v5, -v129, s6                                // 00000000EFFC: D1050005 20000D81
	v_mul_f32_e64 v6, -v130, s6                                // 00000000F004: D1050006 20000D82
	v_mul_f32_e64 v7, -v131, s6                                // 00000000F00C: D1050007 20000D83
	v_exp_f32_e32 v4, v4                                       // 00000000F014: 7E084104
	v_exp_f32_e32 v5, v5                                       // 00000000F018: 7E0A4105
	v_exp_f32_e32 v6, v6                                       // 00000000F01C: 7E0C4106
	v_exp_f32_e32 v7, v7                                       // 00000000F020: 7E0E4107
	v_add_f32_e64 v4, v4, 1.0                                  // 00000000F024: D1010004 0001E504
	v_add_f32_e64 v5, v5, 1.0                                  // 00000000F02C: D1010005 0001E505
	v_add_f32_e64 v6, v6, 1.0                                  // 00000000F034: D1010006 0001E506
	v_add_f32_e64 v7, v7, 1.0                                  // 00000000F03C: D1010007 0001E507
	v_rcp_f32_e32 v4, v4                                       // 00000000F044: 7E084504
	v_rcp_f32_e32 v5, v5                                       // 00000000F048: 7E0A4505
	v_rcp_f32_e32 v6, v6                                       // 00000000F04C: 7E0C4506
	v_rcp_f32_e32 v7, v7                                       // 00000000F050: 7E0E4507
	v_mul_f32_e32 v128, v128, v4                               // 00000000F054: 0B000980
	v_mul_f32_e32 v129, v129, v5                               // 00000000F058: 0B020B81
	v_mul_f32_e32 v130, v130, v6                               // 00000000F05C: 0B040D82
	v_mul_f32_e32 v131, v131, v7                               // 00000000F060: 0B060F83
	v_mul_f32_e32 v128, v128, v208                             // 00000000F064: 0B01A180
	v_mul_f32_e32 v129, v129, v209                             // 00000000F068: 0B03A381
	v_mul_f32_e32 v130, v130, v210                             // 00000000F06C: 0B05A582
	v_mul_f32_e32 v131, v131, v211                             // 00000000F070: 0B07A783
	v_mul_f32_e64 v4, -v132, s6                                // 00000000F074: D1050004 20000D84
	v_mul_f32_e64 v5, -v133, s6                                // 00000000F07C: D1050005 20000D85
	v_mul_f32_e64 v6, -v134, s6                                // 00000000F084: D1050006 20000D86
	v_mul_f32_e64 v7, -v135, s6                                // 00000000F08C: D1050007 20000D87
	v_exp_f32_e32 v4, v4                                       // 00000000F094: 7E084104
	v_exp_f32_e32 v5, v5                                       // 00000000F098: 7E0A4105
	v_exp_f32_e32 v6, v6                                       // 00000000F09C: 7E0C4106
	v_exp_f32_e32 v7, v7                                       // 00000000F0A0: 7E0E4107
	v_add_f32_e64 v4, v4, 1.0                                  // 00000000F0A4: D1010004 0001E504
	v_add_f32_e64 v5, v5, 1.0                                  // 00000000F0AC: D1010005 0001E505
	v_add_f32_e64 v6, v6, 1.0                                  // 00000000F0B4: D1010006 0001E506
	v_add_f32_e64 v7, v7, 1.0                                  // 00000000F0BC: D1010007 0001E507
	v_rcp_f32_e32 v4, v4                                       // 00000000F0C4: 7E084504
	v_rcp_f32_e32 v5, v5                                       // 00000000F0C8: 7E0A4505
	v_rcp_f32_e32 v6, v6                                       // 00000000F0CC: 7E0C4506
	v_rcp_f32_e32 v7, v7                                       // 00000000F0D0: 7E0E4507
	v_mul_f32_e32 v132, v132, v4                               // 00000000F0D4: 0B080984
	v_mul_f32_e32 v133, v133, v5                               // 00000000F0D8: 0B0A0B85
	v_mul_f32_e32 v134, v134, v6                               // 00000000F0DC: 0B0C0D86
	v_mul_f32_e32 v135, v135, v7                               // 00000000F0E0: 0B0E0F87
	v_mul_f32_e32 v132, v132, v212                             // 00000000F0E4: 0B09A984
	v_mul_f32_e32 v133, v133, v213                             // 00000000F0E8: 0B0BAB85
	v_mul_f32_e32 v134, v134, v214                             // 00000000F0EC: 0B0DAD86
	v_mul_f32_e32 v135, v135, v215                             // 00000000F0F0: 0B0FAF87
	v_mul_f32_e64 v4, -v136, s6                                // 00000000F0F4: D1050004 20000D88
	v_mul_f32_e64 v5, -v137, s6                                // 00000000F0FC: D1050005 20000D89
	v_mul_f32_e64 v6, -v138, s6                                // 00000000F104: D1050006 20000D8A
	v_mul_f32_e64 v7, -v139, s6                                // 00000000F10C: D1050007 20000D8B
	v_exp_f32_e32 v4, v4                                       // 00000000F114: 7E084104
	v_exp_f32_e32 v5, v5                                       // 00000000F118: 7E0A4105
	v_exp_f32_e32 v6, v6                                       // 00000000F11C: 7E0C4106
	v_exp_f32_e32 v7, v7                                       // 00000000F120: 7E0E4107
	v_add_f32_e64 v4, v4, 1.0                                  // 00000000F124: D1010004 0001E504
	v_add_f32_e64 v5, v5, 1.0                                  // 00000000F12C: D1010005 0001E505
	v_add_f32_e64 v6, v6, 1.0                                  // 00000000F134: D1010006 0001E506
	v_add_f32_e64 v7, v7, 1.0                                  // 00000000F13C: D1010007 0001E507
	v_rcp_f32_e32 v4, v4                                       // 00000000F144: 7E084504
	v_rcp_f32_e32 v5, v5                                       // 00000000F148: 7E0A4505
	v_rcp_f32_e32 v6, v6                                       // 00000000F14C: 7E0C4506
	v_rcp_f32_e32 v7, v7                                       // 00000000F150: 7E0E4507
	v_mul_f32_e32 v136, v136, v4                               // 00000000F154: 0B100988
	v_mul_f32_e32 v137, v137, v5                               // 00000000F158: 0B120B89
	v_mul_f32_e32 v138, v138, v6                               // 00000000F15C: 0B140D8A
	v_mul_f32_e32 v139, v139, v7                               // 00000000F160: 0B160F8B
	v_mul_f32_e32 v136, v136, v216                             // 00000000F164: 0B11B188
	v_mul_f32_e32 v137, v137, v217                             // 00000000F168: 0B13B389
	v_mul_f32_e32 v138, v138, v218                             // 00000000F16C: 0B15B58A
	v_mul_f32_e32 v139, v139, v219                             // 00000000F170: 0B17B78B
	v_mul_f32_e64 v4, -v140, s6                                // 00000000F174: D1050004 20000D8C
	v_mul_f32_e64 v5, -v141, s6                                // 00000000F17C: D1050005 20000D8D
	v_mul_f32_e64 v6, -v142, s6                                // 00000000F184: D1050006 20000D8E
	v_mul_f32_e64 v7, -v143, s6                                // 00000000F18C: D1050007 20000D8F
	v_exp_f32_e32 v4, v4                                       // 00000000F194: 7E084104
	v_exp_f32_e32 v5, v5                                       // 00000000F198: 7E0A4105
	v_exp_f32_e32 v6, v6                                       // 00000000F19C: 7E0C4106
	v_exp_f32_e32 v7, v7                                       // 00000000F1A0: 7E0E4107
	v_add_f32_e64 v4, v4, 1.0                                  // 00000000F1A4: D1010004 0001E504
	v_add_f32_e64 v5, v5, 1.0                                  // 00000000F1AC: D1010005 0001E505
	v_add_f32_e64 v6, v6, 1.0                                  // 00000000F1B4: D1010006 0001E506
	v_add_f32_e64 v7, v7, 1.0                                  // 00000000F1BC: D1010007 0001E507
	v_rcp_f32_e32 v4, v4                                       // 00000000F1C4: 7E084504
	v_rcp_f32_e32 v5, v5                                       // 00000000F1C8: 7E0A4505
	v_rcp_f32_e32 v6, v6                                       // 00000000F1CC: 7E0C4506
	v_rcp_f32_e32 v7, v7                                       // 00000000F1D0: 7E0E4507
	v_mul_f32_e32 v140, v140, v4                               // 00000000F1D4: 0B18098C
	v_mul_f32_e32 v141, v141, v5                               // 00000000F1D8: 0B1A0B8D
	v_mul_f32_e32 v142, v142, v6                               // 00000000F1DC: 0B1C0D8E
	v_mul_f32_e32 v143, v143, v7                               // 00000000F1E0: 0B1E0F8F
	v_mul_f32_e32 v140, v140, v220                             // 00000000F1E4: 0B19B98C
	v_mul_f32_e32 v141, v141, v221                             // 00000000F1E8: 0B1BBB8D
	v_mul_f32_e32 v142, v142, v222                             // 00000000F1EC: 0B1DBD8E
	v_mul_f32_e32 v143, v143, v223                             // 00000000F1F0: 0B1FBF8F

000000000000f1f4 <label_3200>:
	v_cmp_u_f32_e64 s[46:47], v64, v64                         // 00000000F1F4: D048002E 00028140
	v_add3_u32 v16, v64, v19, 1                                // 00000000F1FC: D1FF0010 02062740
	v_cndmask_b32_e64 v4, v16, v18, s[46:47]                   // 00000000F204: D1000004 00BA2510
	v_cmp_u_f32_e64 s[46:47], v65, v65                         // 00000000F20C: D048002E 00028341
	v_add3_u32 v16, v65, v19, 1                                // 00000000F214: D1FF0010 02062741
	v_cndmask_b32_e64 v5, v16, v18, s[46:47]                   // 00000000F21C: D1000005 00BA2510
	v_perm_b32 v64, v5, v4, s52                                // 00000000F224: D1ED0040 00D20905
	v_cmp_u_f32_e64 s[46:47], v66, v66                         // 00000000F22C: D048002E 00028542
	v_add3_u32 v16, v66, v19, 1                                // 00000000F234: D1FF0010 02062742
	v_cndmask_b32_e64 v4, v16, v18, s[46:47]                   // 00000000F23C: D1000004 00BA2510
	v_cmp_u_f32_e64 s[46:47], v67, v67                         // 00000000F244: D048002E 00028743
	v_add3_u32 v16, v67, v19, 1                                // 00000000F24C: D1FF0010 02062743
	v_cndmask_b32_e64 v5, v16, v18, s[46:47]                   // 00000000F254: D1000005 00BA2510
	v_perm_b32 v65, v5, v4, s52                                // 00000000F25C: D1ED0041 00D20905
	v_cmp_u_f32_e64 s[46:47], v68, v68                         // 00000000F264: D048002E 00028944
	v_add3_u32 v16, v68, v19, 1                                // 00000000F26C: D1FF0010 02062744
	v_cndmask_b32_e64 v4, v16, v18, s[46:47]                   // 00000000F274: D1000004 00BA2510
	v_cmp_u_f32_e64 s[46:47], v69, v69                         // 00000000F27C: D048002E 00028B45
	v_add3_u32 v16, v69, v19, 1                                // 00000000F284: D1FF0010 02062745
	v_cndmask_b32_e64 v5, v16, v18, s[46:47]                   // 00000000F28C: D1000005 00BA2510
	v_perm_b32 v66, v5, v4, s52                                // 00000000F294: D1ED0042 00D20905
	v_cmp_u_f32_e64 s[46:47], v70, v70                         // 00000000F29C: D048002E 00028D46
	v_add3_u32 v16, v70, v19, 1                                // 00000000F2A4: D1FF0010 02062746
	v_cndmask_b32_e64 v4, v16, v18, s[46:47]                   // 00000000F2AC: D1000004 00BA2510
	v_cmp_u_f32_e64 s[46:47], v71, v71                         // 00000000F2B4: D048002E 00028F47
	v_add3_u32 v16, v71, v19, 1                                // 00000000F2BC: D1FF0010 02062747
	v_cndmask_b32_e64 v5, v16, v18, s[46:47]                   // 00000000F2C4: D1000005 00BA2510
	v_perm_b32 v67, v5, v4, s52                                // 00000000F2CC: D1ED0043 00D20905
	v_cmp_u_f32_e64 s[46:47], v72, v72                         // 00000000F2D4: D048002E 00029148
	v_add3_u32 v16, v72, v19, 1                                // 00000000F2DC: D1FF0010 02062748
	v_cndmask_b32_e64 v4, v16, v18, s[46:47]                   // 00000000F2E4: D1000004 00BA2510
	v_cmp_u_f32_e64 s[46:47], v73, v73                         // 00000000F2EC: D048002E 00029349
	v_add3_u32 v16, v73, v19, 1                                // 00000000F2F4: D1FF0010 02062749
	v_cndmask_b32_e64 v5, v16, v18, s[46:47]                   // 00000000F2FC: D1000005 00BA2510
	v_perm_b32 v68, v5, v4, s52                                // 00000000F304: D1ED0044 00D20905
	v_cmp_u_f32_e64 s[46:47], v74, v74                         // 00000000F30C: D048002E 0002954A
	v_add3_u32 v16, v74, v19, 1                                // 00000000F314: D1FF0010 0206274A
	v_cndmask_b32_e64 v4, v16, v18, s[46:47]                   // 00000000F31C: D1000004 00BA2510
	v_cmp_u_f32_e64 s[46:47], v75, v75                         // 00000000F324: D048002E 0002974B
	v_add3_u32 v16, v75, v19, 1                                // 00000000F32C: D1FF0010 0206274B
	v_cndmask_b32_e64 v5, v16, v18, s[46:47]                   // 00000000F334: D1000005 00BA2510
	v_perm_b32 v69, v5, v4, s52                                // 00000000F33C: D1ED0045 00D20905
	v_cmp_u_f32_e64 s[46:47], v76, v76                         // 00000000F344: D048002E 0002994C
	v_add3_u32 v16, v76, v19, 1                                // 00000000F34C: D1FF0010 0206274C
	v_cndmask_b32_e64 v4, v16, v18, s[46:47]                   // 00000000F354: D1000004 00BA2510
	v_cmp_u_f32_e64 s[46:47], v77, v77                         // 00000000F35C: D048002E 00029B4D
	v_add3_u32 v16, v77, v19, 1                                // 00000000F364: D1FF0010 0206274D
	v_cndmask_b32_e64 v5, v16, v18, s[46:47]                   // 00000000F36C: D1000005 00BA2510
	v_perm_b32 v70, v5, v4, s52                                // 00000000F374: D1ED0046 00D20905
	v_cmp_u_f32_e64 s[46:47], v78, v78                         // 00000000F37C: D048002E 00029D4E
	v_add3_u32 v16, v78, v19, 1                                // 00000000F384: D1FF0010 0206274E
	v_cndmask_b32_e64 v4, v16, v18, s[46:47]                   // 00000000F38C: D1000004 00BA2510
	v_cmp_u_f32_e64 s[46:47], v79, v79                         // 00000000F394: D048002E 00029F4F
	v_add3_u32 v16, v79, v19, 1                                // 00000000F39C: D1FF0010 0206274F
	v_cndmask_b32_e64 v5, v16, v18, s[46:47]                   // 00000000F3A4: D1000005 00BA2510
	v_perm_b32 v71, v5, v4, s52                                // 00000000F3AC: D1ED0047 00D20905
	v_cmp_u_f32_e64 s[46:47], v80, v80                         // 00000000F3B4: D048002E 0002A150
	v_add3_u32 v16, v80, v19, 1                                // 00000000F3BC: D1FF0010 02062750
	v_cndmask_b32_e64 v4, v16, v18, s[46:47]                   // 00000000F3C4: D1000004 00BA2510
	v_cmp_u_f32_e64 s[46:47], v81, v81                         // 00000000F3CC: D048002E 0002A351
	v_add3_u32 v16, v81, v19, 1                                // 00000000F3D4: D1FF0010 02062751
	v_cndmask_b32_e64 v5, v16, v18, s[46:47]                   // 00000000F3DC: D1000005 00BA2510
	v_perm_b32 v72, v5, v4, s52                                // 00000000F3E4: D1ED0048 00D20905
	v_cmp_u_f32_e64 s[46:47], v82, v82                         // 00000000F3EC: D048002E 0002A552
	v_add3_u32 v16, v82, v19, 1                                // 00000000F3F4: D1FF0010 02062752
	v_cndmask_b32_e64 v4, v16, v18, s[46:47]                   // 00000000F3FC: D1000004 00BA2510
	v_cmp_u_f32_e64 s[46:47], v83, v83                         // 00000000F404: D048002E 0002A753
	v_add3_u32 v16, v83, v19, 1                                // 00000000F40C: D1FF0010 02062753
	v_cndmask_b32_e64 v5, v16, v18, s[46:47]                   // 00000000F414: D1000005 00BA2510
	v_perm_b32 v73, v5, v4, s52                                // 00000000F41C: D1ED0049 00D20905
	v_cmp_u_f32_e64 s[46:47], v84, v84                         // 00000000F424: D048002E 0002A954
	v_add3_u32 v16, v84, v19, 1                                // 00000000F42C: D1FF0010 02062754
	v_cndmask_b32_e64 v4, v16, v18, s[46:47]                   // 00000000F434: D1000004 00BA2510
	v_cmp_u_f32_e64 s[46:47], v85, v85                         // 00000000F43C: D048002E 0002AB55
	v_add3_u32 v16, v85, v19, 1                                // 00000000F444: D1FF0010 02062755
	v_cndmask_b32_e64 v5, v16, v18, s[46:47]                   // 00000000F44C: D1000005 00BA2510
	v_perm_b32 v74, v5, v4, s52                                // 00000000F454: D1ED004A 00D20905
	v_cmp_u_f32_e64 s[46:47], v86, v86                         // 00000000F45C: D048002E 0002AD56
	v_add3_u32 v16, v86, v19, 1                                // 00000000F464: D1FF0010 02062756
	v_cndmask_b32_e64 v4, v16, v18, s[46:47]                   // 00000000F46C: D1000004 00BA2510
	v_cmp_u_f32_e64 s[46:47], v87, v87                         // 00000000F474: D048002E 0002AF57
	v_add3_u32 v16, v87, v19, 1                                // 00000000F47C: D1FF0010 02062757
	v_cndmask_b32_e64 v5, v16, v18, s[46:47]                   // 00000000F484: D1000005 00BA2510
	v_perm_b32 v75, v5, v4, s52                                // 00000000F48C: D1ED004B 00D20905
	v_cmp_u_f32_e64 s[46:47], v88, v88                         // 00000000F494: D048002E 0002B158
	v_add3_u32 v16, v88, v19, 1                                // 00000000F49C: D1FF0010 02062758
	v_cndmask_b32_e64 v4, v16, v18, s[46:47]                   // 00000000F4A4: D1000004 00BA2510
	v_cmp_u_f32_e64 s[46:47], v89, v89                         // 00000000F4AC: D048002E 0002B359
	v_add3_u32 v16, v89, v19, 1                                // 00000000F4B4: D1FF0010 02062759
	v_cndmask_b32_e64 v5, v16, v18, s[46:47]                   // 00000000F4BC: D1000005 00BA2510
	v_perm_b32 v76, v5, v4, s52                                // 00000000F4C4: D1ED004C 00D20905
	v_cmp_u_f32_e64 s[46:47], v90, v90                         // 00000000F4CC: D048002E 0002B55A
	v_add3_u32 v16, v90, v19, 1                                // 00000000F4D4: D1FF0010 0206275A
	v_cndmask_b32_e64 v4, v16, v18, s[46:47]                   // 00000000F4DC: D1000004 00BA2510
	v_cmp_u_f32_e64 s[46:47], v91, v91                         // 00000000F4E4: D048002E 0002B75B
	v_add3_u32 v16, v91, v19, 1                                // 00000000F4EC: D1FF0010 0206275B
	v_cndmask_b32_e64 v5, v16, v18, s[46:47]                   // 00000000F4F4: D1000005 00BA2510
	v_perm_b32 v77, v5, v4, s52                                // 00000000F4FC: D1ED004D 00D20905
	v_cmp_u_f32_e64 s[46:47], v92, v92                         // 00000000F504: D048002E 0002B95C
	v_add3_u32 v16, v92, v19, 1                                // 00000000F50C: D1FF0010 0206275C
	v_cndmask_b32_e64 v4, v16, v18, s[46:47]                   // 00000000F514: D1000004 00BA2510
	v_cmp_u_f32_e64 s[46:47], v93, v93                         // 00000000F51C: D048002E 0002BB5D
	v_add3_u32 v16, v93, v19, 1                                // 00000000F524: D1FF0010 0206275D
	v_cndmask_b32_e64 v5, v16, v18, s[46:47]                   // 00000000F52C: D1000005 00BA2510
	v_perm_b32 v78, v5, v4, s52                                // 00000000F534: D1ED004E 00D20905
	v_cmp_u_f32_e64 s[46:47], v94, v94                         // 00000000F53C: D048002E 0002BD5E
	v_add3_u32 v16, v94, v19, 1                                // 00000000F544: D1FF0010 0206275E
	v_cndmask_b32_e64 v4, v16, v18, s[46:47]                   // 00000000F54C: D1000004 00BA2510
	v_cmp_u_f32_e64 s[46:47], v95, v95                         // 00000000F554: D048002E 0002BF5F
	v_add3_u32 v16, v95, v19, 1                                // 00000000F55C: D1FF0010 0206275F
	v_cndmask_b32_e64 v5, v16, v18, s[46:47]                   // 00000000F564: D1000005 00BA2510
	v_perm_b32 v79, v5, v4, s52                                // 00000000F56C: D1ED004F 00D20905
	v_cmp_u_f32_e64 s[46:47], v96, v96                         // 00000000F574: D048002E 0002C160
	v_add3_u32 v16, v96, v19, 1                                // 00000000F57C: D1FF0010 02062760
	v_cndmask_b32_e64 v4, v16, v18, s[46:47]                   // 00000000F584: D1000004 00BA2510
	v_cmp_u_f32_e64 s[46:47], v97, v97                         // 00000000F58C: D048002E 0002C361
	v_add3_u32 v16, v97, v19, 1                                // 00000000F594: D1FF0010 02062761
	v_cndmask_b32_e64 v5, v16, v18, s[46:47]                   // 00000000F59C: D1000005 00BA2510
	v_perm_b32 v80, v5, v4, s52                                // 00000000F5A4: D1ED0050 00D20905
	v_cmp_u_f32_e64 s[46:47], v98, v98                         // 00000000F5AC: D048002E 0002C562
	v_add3_u32 v16, v98, v19, 1                                // 00000000F5B4: D1FF0010 02062762
	v_cndmask_b32_e64 v4, v16, v18, s[46:47]                   // 00000000F5BC: D1000004 00BA2510
	v_cmp_u_f32_e64 s[46:47], v99, v99                         // 00000000F5C4: D048002E 0002C763
	v_add3_u32 v16, v99, v19, 1                                // 00000000F5CC: D1FF0010 02062763
	v_cndmask_b32_e64 v5, v16, v18, s[46:47]                   // 00000000F5D4: D1000005 00BA2510
	v_perm_b32 v81, v5, v4, s52                                // 00000000F5DC: D1ED0051 00D20905
	v_cmp_u_f32_e64 s[46:47], v100, v100                       // 00000000F5E4: D048002E 0002C964
	v_add3_u32 v16, v100, v19, 1                               // 00000000F5EC: D1FF0010 02062764
	v_cndmask_b32_e64 v4, v16, v18, s[46:47]                   // 00000000F5F4: D1000004 00BA2510
	v_cmp_u_f32_e64 s[46:47], v101, v101                       // 00000000F5FC: D048002E 0002CB65
	v_add3_u32 v16, v101, v19, 1                               // 00000000F604: D1FF0010 02062765
	v_cndmask_b32_e64 v5, v16, v18, s[46:47]                   // 00000000F60C: D1000005 00BA2510
	v_perm_b32 v82, v5, v4, s52                                // 00000000F614: D1ED0052 00D20905
	v_cmp_u_f32_e64 s[46:47], v102, v102                       // 00000000F61C: D048002E 0002CD66
	v_add3_u32 v16, v102, v19, 1                               // 00000000F624: D1FF0010 02062766
	v_cndmask_b32_e64 v4, v16, v18, s[46:47]                   // 00000000F62C: D1000004 00BA2510
	v_cmp_u_f32_e64 s[46:47], v103, v103                       // 00000000F634: D048002E 0002CF67
	v_add3_u32 v16, v103, v19, 1                               // 00000000F63C: D1FF0010 02062767
	v_cndmask_b32_e64 v5, v16, v18, s[46:47]                   // 00000000F644: D1000005 00BA2510
	v_perm_b32 v83, v5, v4, s52                                // 00000000F64C: D1ED0053 00D20905
	v_cmp_u_f32_e64 s[46:47], v104, v104                       // 00000000F654: D048002E 0002D168
	v_add3_u32 v16, v104, v19, 1                               // 00000000F65C: D1FF0010 02062768
	v_cndmask_b32_e64 v4, v16, v18, s[46:47]                   // 00000000F664: D1000004 00BA2510
	v_cmp_u_f32_e64 s[46:47], v105, v105                       // 00000000F66C: D048002E 0002D369
	v_add3_u32 v16, v105, v19, 1                               // 00000000F674: D1FF0010 02062769
	v_cndmask_b32_e64 v5, v16, v18, s[46:47]                   // 00000000F67C: D1000005 00BA2510
	v_perm_b32 v84, v5, v4, s52                                // 00000000F684: D1ED0054 00D20905
	v_cmp_u_f32_e64 s[46:47], v106, v106                       // 00000000F68C: D048002E 0002D56A
	v_add3_u32 v16, v106, v19, 1                               // 00000000F694: D1FF0010 0206276A
	v_cndmask_b32_e64 v4, v16, v18, s[46:47]                   // 00000000F69C: D1000004 00BA2510
	v_cmp_u_f32_e64 s[46:47], v107, v107                       // 00000000F6A4: D048002E 0002D76B
	v_add3_u32 v16, v107, v19, 1                               // 00000000F6AC: D1FF0010 0206276B
	v_cndmask_b32_e64 v5, v16, v18, s[46:47]                   // 00000000F6B4: D1000005 00BA2510
	v_perm_b32 v85, v5, v4, s52                                // 00000000F6BC: D1ED0055 00D20905
	v_cmp_u_f32_e64 s[46:47], v108, v108                       // 00000000F6C4: D048002E 0002D96C
	v_add3_u32 v16, v108, v19, 1                               // 00000000F6CC: D1FF0010 0206276C
	v_cndmask_b32_e64 v4, v16, v18, s[46:47]                   // 00000000F6D4: D1000004 00BA2510
	v_cmp_u_f32_e64 s[46:47], v109, v109                       // 00000000F6DC: D048002E 0002DB6D
	v_add3_u32 v16, v109, v19, 1                               // 00000000F6E4: D1FF0010 0206276D
	v_cndmask_b32_e64 v5, v16, v18, s[46:47]                   // 00000000F6EC: D1000005 00BA2510
	v_perm_b32 v86, v5, v4, s52                                // 00000000F6F4: D1ED0056 00D20905
	v_cmp_u_f32_e64 s[46:47], v110, v110                       // 00000000F6FC: D048002E 0002DD6E
	v_add3_u32 v16, v110, v19, 1                               // 00000000F704: D1FF0010 0206276E
	v_cndmask_b32_e64 v4, v16, v18, s[46:47]                   // 00000000F70C: D1000004 00BA2510
	v_cmp_u_f32_e64 s[46:47], v111, v111                       // 00000000F714: D048002E 0002DF6F
	v_add3_u32 v16, v111, v19, 1                               // 00000000F71C: D1FF0010 0206276F
	v_cndmask_b32_e64 v5, v16, v18, s[46:47]                   // 00000000F724: D1000005 00BA2510
	v_perm_b32 v87, v5, v4, s52                                // 00000000F72C: D1ED0057 00D20905
	v_cmp_u_f32_e64 s[46:47], v112, v112                       // 00000000F734: D048002E 0002E170
	v_add3_u32 v16, v112, v19, 1                               // 00000000F73C: D1FF0010 02062770
	v_cndmask_b32_e64 v4, v16, v18, s[46:47]                   // 00000000F744: D1000004 00BA2510
	v_cmp_u_f32_e64 s[46:47], v113, v113                       // 00000000F74C: D048002E 0002E371
	v_add3_u32 v16, v113, v19, 1                               // 00000000F754: D1FF0010 02062771
	v_cndmask_b32_e64 v5, v16, v18, s[46:47]                   // 00000000F75C: D1000005 00BA2510
	v_perm_b32 v88, v5, v4, s52                                // 00000000F764: D1ED0058 00D20905
	v_cmp_u_f32_e64 s[46:47], v114, v114                       // 00000000F76C: D048002E 0002E572
	v_add3_u32 v16, v114, v19, 1                               // 00000000F774: D1FF0010 02062772
	v_cndmask_b32_e64 v4, v16, v18, s[46:47]                   // 00000000F77C: D1000004 00BA2510
	v_cmp_u_f32_e64 s[46:47], v115, v115                       // 00000000F784: D048002E 0002E773
	v_add3_u32 v16, v115, v19, 1                               // 00000000F78C: D1FF0010 02062773
	v_cndmask_b32_e64 v5, v16, v18, s[46:47]                   // 00000000F794: D1000005 00BA2510
	v_perm_b32 v89, v5, v4, s52                                // 00000000F79C: D1ED0059 00D20905
	v_cmp_u_f32_e64 s[46:47], v116, v116                       // 00000000F7A4: D048002E 0002E974
	v_add3_u32 v16, v116, v19, 1                               // 00000000F7AC: D1FF0010 02062774
	v_cndmask_b32_e64 v4, v16, v18, s[46:47]                   // 00000000F7B4: D1000004 00BA2510
	v_cmp_u_f32_e64 s[46:47], v117, v117                       // 00000000F7BC: D048002E 0002EB75
	v_add3_u32 v16, v117, v19, 1                               // 00000000F7C4: D1FF0010 02062775
	v_cndmask_b32_e64 v5, v16, v18, s[46:47]                   // 00000000F7CC: D1000005 00BA2510
	v_perm_b32 v90, v5, v4, s52                                // 00000000F7D4: D1ED005A 00D20905
	v_cmp_u_f32_e64 s[46:47], v118, v118                       // 00000000F7DC: D048002E 0002ED76
	v_add3_u32 v16, v118, v19, 1                               // 00000000F7E4: D1FF0010 02062776
	v_cndmask_b32_e64 v4, v16, v18, s[46:47]                   // 00000000F7EC: D1000004 00BA2510
	v_cmp_u_f32_e64 s[46:47], v119, v119                       // 00000000F7F4: D048002E 0002EF77
	v_add3_u32 v16, v119, v19, 1                               // 00000000F7FC: D1FF0010 02062777
	v_cndmask_b32_e64 v5, v16, v18, s[46:47]                   // 00000000F804: D1000005 00BA2510
	v_perm_b32 v91, v5, v4, s52                                // 00000000F80C: D1ED005B 00D20905
	v_cmp_u_f32_e64 s[46:47], v120, v120                       // 00000000F814: D048002E 0002F178
	v_add3_u32 v16, v120, v19, 1                               // 00000000F81C: D1FF0010 02062778
	v_cndmask_b32_e64 v4, v16, v18, s[46:47]                   // 00000000F824: D1000004 00BA2510
	v_cmp_u_f32_e64 s[46:47], v121, v121                       // 00000000F82C: D048002E 0002F379
	v_add3_u32 v16, v121, v19, 1                               // 00000000F834: D1FF0010 02062779
	v_cndmask_b32_e64 v5, v16, v18, s[46:47]                   // 00000000F83C: D1000005 00BA2510
	v_perm_b32 v92, v5, v4, s52                                // 00000000F844: D1ED005C 00D20905
	v_cmp_u_f32_e64 s[46:47], v122, v122                       // 00000000F84C: D048002E 0002F57A
	v_add3_u32 v16, v122, v19, 1                               // 00000000F854: D1FF0010 0206277A
	v_cndmask_b32_e64 v4, v16, v18, s[46:47]                   // 00000000F85C: D1000004 00BA2510
	v_cmp_u_f32_e64 s[46:47], v123, v123                       // 00000000F864: D048002E 0002F77B
	v_add3_u32 v16, v123, v19, 1                               // 00000000F86C: D1FF0010 0206277B
	v_cndmask_b32_e64 v5, v16, v18, s[46:47]                   // 00000000F874: D1000005 00BA2510
	v_perm_b32 v93, v5, v4, s52                                // 00000000F87C: D1ED005D 00D20905
	v_cmp_u_f32_e64 s[46:47], v124, v124                       // 00000000F884: D048002E 0002F97C
	v_add3_u32 v16, v124, v19, 1                               // 00000000F88C: D1FF0010 0206277C
	v_cndmask_b32_e64 v4, v16, v18, s[46:47]                   // 00000000F894: D1000004 00BA2510
	v_cmp_u_f32_e64 s[46:47], v125, v125                       // 00000000F89C: D048002E 0002FB7D
	v_add3_u32 v16, v125, v19, 1                               // 00000000F8A4: D1FF0010 0206277D
	v_cndmask_b32_e64 v5, v16, v18, s[46:47]                   // 00000000F8AC: D1000005 00BA2510
	v_perm_b32 v94, v5, v4, s52                                // 00000000F8B4: D1ED005E 00D20905
	v_cmp_u_f32_e64 s[46:47], v126, v126                       // 00000000F8BC: D048002E 0002FD7E
	v_add3_u32 v16, v126, v19, 1                               // 00000000F8C4: D1FF0010 0206277E
	v_cndmask_b32_e64 v4, v16, v18, s[46:47]                   // 00000000F8CC: D1000004 00BA2510
	v_cmp_u_f32_e64 s[46:47], v127, v127                       // 00000000F8D4: D048002E 0002FF7F
	v_add3_u32 v16, v127, v19, 1                               // 00000000F8DC: D1FF0010 0206277F
	v_cndmask_b32_e64 v5, v16, v18, s[46:47]                   // 00000000F8E4: D1000005 00BA2510
	v_perm_b32 v95, v5, v4, s52                                // 00000000F8EC: D1ED005F 00D20905
	v_cmp_u_f32_e64 s[46:47], v128, v128                       // 00000000F8F4: D048002E 00030180
	v_add3_u32 v16, v128, v19, 1                               // 00000000F8FC: D1FF0010 02062780
	v_cndmask_b32_e64 v4, v16, v18, s[46:47]                   // 00000000F904: D1000004 00BA2510
	v_cmp_u_f32_e64 s[46:47], v129, v129                       // 00000000F90C: D048002E 00030381
	v_add3_u32 v16, v129, v19, 1                               // 00000000F914: D1FF0010 02062781
	v_cndmask_b32_e64 v5, v16, v18, s[46:47]                   // 00000000F91C: D1000005 00BA2510
	v_perm_b32 v96, v5, v4, s52                                // 00000000F924: D1ED0060 00D20905
	v_cmp_u_f32_e64 s[46:47], v130, v130                       // 00000000F92C: D048002E 00030582
	v_add3_u32 v16, v130, v19, 1                               // 00000000F934: D1FF0010 02062782
	v_cndmask_b32_e64 v4, v16, v18, s[46:47]                   // 00000000F93C: D1000004 00BA2510
	v_cmp_u_f32_e64 s[46:47], v131, v131                       // 00000000F944: D048002E 00030783
	v_add3_u32 v16, v131, v19, 1                               // 00000000F94C: D1FF0010 02062783
	v_cndmask_b32_e64 v5, v16, v18, s[46:47]                   // 00000000F954: D1000005 00BA2510
	v_perm_b32 v97, v5, v4, s52                                // 00000000F95C: D1ED0061 00D20905
	v_cmp_u_f32_e64 s[46:47], v132, v132                       // 00000000F964: D048002E 00030984
	v_add3_u32 v16, v132, v19, 1                               // 00000000F96C: D1FF0010 02062784
	v_cndmask_b32_e64 v4, v16, v18, s[46:47]                   // 00000000F974: D1000004 00BA2510
	v_cmp_u_f32_e64 s[46:47], v133, v133                       // 00000000F97C: D048002E 00030B85
	v_add3_u32 v16, v133, v19, 1                               // 00000000F984: D1FF0010 02062785
	v_cndmask_b32_e64 v5, v16, v18, s[46:47]                   // 00000000F98C: D1000005 00BA2510
	v_perm_b32 v98, v5, v4, s52                                // 00000000F994: D1ED0062 00D20905
	v_cmp_u_f32_e64 s[46:47], v134, v134                       // 00000000F99C: D048002E 00030D86
	v_add3_u32 v16, v134, v19, 1                               // 00000000F9A4: D1FF0010 02062786
	v_cndmask_b32_e64 v4, v16, v18, s[46:47]                   // 00000000F9AC: D1000004 00BA2510
	v_cmp_u_f32_e64 s[46:47], v135, v135                       // 00000000F9B4: D048002E 00030F87
	v_add3_u32 v16, v135, v19, 1                               // 00000000F9BC: D1FF0010 02062787
	v_cndmask_b32_e64 v5, v16, v18, s[46:47]                   // 00000000F9C4: D1000005 00BA2510
	v_perm_b32 v99, v5, v4, s52                                // 00000000F9CC: D1ED0063 00D20905
	v_cmp_u_f32_e64 s[46:47], v136, v136                       // 00000000F9D4: D048002E 00031188
	v_add3_u32 v16, v136, v19, 1                               // 00000000F9DC: D1FF0010 02062788
	v_cndmask_b32_e64 v4, v16, v18, s[46:47]                   // 00000000F9E4: D1000004 00BA2510
	v_cmp_u_f32_e64 s[46:47], v137, v137                       // 00000000F9EC: D048002E 00031389
	v_add3_u32 v16, v137, v19, 1                               // 00000000F9F4: D1FF0010 02062789
	v_cndmask_b32_e64 v5, v16, v18, s[46:47]                   // 00000000F9FC: D1000005 00BA2510
	v_perm_b32 v100, v5, v4, s52                               // 00000000FA04: D1ED0064 00D20905
	v_cmp_u_f32_e64 s[46:47], v138, v138                       // 00000000FA0C: D048002E 0003158A
	v_add3_u32 v16, v138, v19, 1                               // 00000000FA14: D1FF0010 0206278A
	v_cndmask_b32_e64 v4, v16, v18, s[46:47]                   // 00000000FA1C: D1000004 00BA2510
	v_cmp_u_f32_e64 s[46:47], v139, v139                       // 00000000FA24: D048002E 0003178B
	v_add3_u32 v16, v139, v19, 1                               // 00000000FA2C: D1FF0010 0206278B
	v_cndmask_b32_e64 v5, v16, v18, s[46:47]                   // 00000000FA34: D1000005 00BA2510
	v_perm_b32 v101, v5, v4, s52                               // 00000000FA3C: D1ED0065 00D20905
	v_cmp_u_f32_e64 s[46:47], v140, v140                       // 00000000FA44: D048002E 0003198C
	v_add3_u32 v16, v140, v19, 1                               // 00000000FA4C: D1FF0010 0206278C
	v_cndmask_b32_e64 v4, v16, v18, s[46:47]                   // 00000000FA54: D1000004 00BA2510
	v_cmp_u_f32_e64 s[46:47], v141, v141                       // 00000000FA5C: D048002E 00031B8D
	v_add3_u32 v16, v141, v19, 1                               // 00000000FA64: D1FF0010 0206278D
	v_cndmask_b32_e64 v5, v16, v18, s[46:47]                   // 00000000FA6C: D1000005 00BA2510
	v_perm_b32 v102, v5, v4, s52                               // 00000000FA74: D1ED0066 00D20905
	v_cmp_u_f32_e64 s[46:47], v142, v142                       // 00000000FA7C: D048002E 00031D8E
	v_add3_u32 v16, v142, v19, 1                               // 00000000FA84: D1FF0010 0206278E
	v_cndmask_b32_e64 v4, v16, v18, s[46:47]                   // 00000000FA8C: D1000004 00BA2510
	v_cmp_u_f32_e64 s[46:47], v143, v143                       // 00000000FA94: D048002E 00031F8F
	v_add3_u32 v16, v143, v19, 1                               // 00000000FA9C: D1FF0010 0206278F
	v_cndmask_b32_e64 v5, v16, v18, s[46:47]                   // 00000000FAA4: D1000005 00BA2510
	v_perm_b32 v103, v5, v4, s52                               // 00000000FAAC: D1ED0067 00D20905
	ds_write_b64 v20, v[64:65]                                 // 00000000FAB4: D89A0000 00004014
	ds_write_b64 v20, v[66:67] offset:8704                     // 00000000FABC: D89A2200 00004214
	ds_write_b64 v20, v[68:69] offset:17408                    // 00000000FAC4: D89A4400 00004414
	ds_write_b64 v20, v[70:71] offset:26112                    // 00000000FACC: D89A6600 00004614
	ds_write_b64 v20, v[72:73] offset:34816                    // 00000000FAD4: D89A8800 00004814
	ds_write_b64 v20, v[74:75] offset:2176                     // 00000000FADC: D89A0880 00004A14
	ds_write_b64 v20, v[76:77] offset:10880                    // 00000000FAE4: D89A2A80 00004C14
	ds_write_b64 v20, v[78:79] offset:19584                    // 00000000FAEC: D89A4C80 00004E14
	ds_write_b64 v20, v[80:81] offset:28288                    // 00000000FAF4: D89A6E80 00005014
	ds_write_b64 v20, v[82:83] offset:36992                    // 00000000FAFC: D89A9080 00005214
	ds_write_b64 v20, v[84:85] offset:4352                     // 00000000FB04: D89A1100 00005414
	ds_write_b64 v20, v[86:87] offset:13056                    // 00000000FB0C: D89A3300 00005614
	ds_write_b64 v20, v[88:89] offset:21760                    // 00000000FB14: D89A5500 00005814
	ds_write_b64 v20, v[90:91] offset:30464                    // 00000000FB1C: D89A7700 00005A14
	ds_write_b64 v20, v[92:93] offset:39168                    // 00000000FB24: D89A9900 00005C14
	ds_write_b64 v20, v[94:95] offset:6528                     // 00000000FB2C: D89A1980 00005E14
	ds_write_b64 v20, v[96:97] offset:15232                    // 00000000FB34: D89A3B80 00006014
	ds_write_b64 v20, v[98:99] offset:23936                    // 00000000FB3C: D89A5D80 00006214
	ds_write_b64 v20, v[100:101] offset:32640                  // 00000000FB44: D89A7F80 00006414
	ds_write_b64 v20, v[102:103] offset:41344                  // 00000000FB4C: D89AA180 00006614
	v_lshrrev_b32_e32 v4, 5, v0                                // 00000000FB54: 20080085
	v_xor_b32_e32 v5, 1, v4                                    // 00000000FB58: 2A0A0881
	s_mul_i32 s60, s65, 2                                      // 00000000FB5C: 923C8241
	s_cmp_eq_u32 s88, 0                                        // 00000000FB60: BF068058
	s_cselect_b32 s61, 1, 4                                    // 00000000FB64: 853D8481
	s_mul_i32 s60, s61, s60                                    // 00000000FB68: 923C3C3D
	v_readlane_b32 s82, v3, 0                                  // 00000000FB6C: D2890052 00010103
	s_lshr_b32 s61, s82, 24                                    // 00000000FB74: 8F3D9852
	s_and_b32 s82, s82, 0xffffff                               // 00000000FB78: 8652FF52 00FFFFFF
	s_mul_i32 s82, s82, s71                                    // 00000000FB80: 92524752
	s_mul_i32 s61, s60, s61                                    // 00000000FB84: 923D3D3C
	s_add_u32 s82, s82, s61                                    // 00000000FB88: 80523D52
	v_mul_lo_u32 v6, v5, s82                                   // 00000000FB8C: D2850006 0000A505
	v_readlane_b32 s82, v3, 1                                  // 00000000FB94: D2890052 00010303
	s_lshr_b32 s61, s82, 24                                    // 00000000FB9C: 8F3D9852
	s_and_b32 s82, s82, 0xffffff                               // 00000000FBA0: 8652FF52 00FFFFFF
	s_mul_i32 s82, s82, s71                                    // 00000000FBA8: 92524752
	s_mul_i32 s61, s60, s61                                    // 00000000FBAC: 923D3D3C
	s_add_u32 s82, s82, s61                                    // 00000000FBB0: 80523D52
	v_mul_lo_u32 v7, v4, s82                                   // 00000000FBB4: D2850007 0000A504
	v_add_u32_e32 v50, v6, v7                                  // 00000000FBBC: 68640F06
	v_readlane_b32 s82, v3, 2                                  // 00000000FBC0: D2890052 00010503
	s_lshr_b32 s61, s82, 24                                    // 00000000FBC8: 8F3D9852
	s_and_b32 s82, s82, 0xffffff                               // 00000000FBCC: 8652FF52 00FFFFFF
	s_mul_i32 s82, s82, s71                                    // 00000000FBD4: 92524752
	s_mul_i32 s61, s60, s61                                    // 00000000FBD8: 923D3D3C
	s_add_u32 s82, s82, s61                                    // 00000000FBDC: 80523D52
	v_mul_lo_u32 v6, v5, s82                                   // 00000000FBE0: D2850006 0000A505
	v_readlane_b32 s82, v3, 3                                  // 00000000FBE8: D2890052 00010703
	s_lshr_b32 s61, s82, 24                                    // 00000000FBF0: 8F3D9852
	s_and_b32 s82, s82, 0xffffff                               // 00000000FBF4: 8652FF52 00FFFFFF
	s_mul_i32 s82, s82, s71                                    // 00000000FBFC: 92524752
	s_mul_i32 s61, s60, s61                                    // 00000000FC00: 923D3D3C
	s_add_u32 s82, s82, s61                                    // 00000000FC04: 80523D52
	v_mul_lo_u32 v7, v4, s82                                   // 00000000FC08: D2850007 0000A504
	v_add_u32_e32 v51, v6, v7                                  // 00000000FC10: 68660F06
	v_readlane_b32 s82, v3, 4                                  // 00000000FC14: D2890052 00010903
	s_lshr_b32 s61, s82, 24                                    // 00000000FC1C: 8F3D9852
	s_and_b32 s82, s82, 0xffffff                               // 00000000FC20: 8652FF52 00FFFFFF
	s_mul_i32 s82, s82, s71                                    // 00000000FC28: 92524752
	s_mul_i32 s61, s60, s61                                    // 00000000FC2C: 923D3D3C
	s_add_u32 s82, s82, s61                                    // 00000000FC30: 80523D52
	v_mul_lo_u32 v6, v5, s82                                   // 00000000FC34: D2850006 0000A505
	v_readlane_b32 s82, v3, 5                                  // 00000000FC3C: D2890052 00010B03
	s_lshr_b32 s61, s82, 24                                    // 00000000FC44: 8F3D9852
	s_and_b32 s82, s82, 0xffffff                               // 00000000FC48: 8652FF52 00FFFFFF
	s_mul_i32 s82, s82, s71                                    // 00000000FC50: 92524752
	s_mul_i32 s61, s60, s61                                    // 00000000FC54: 923D3D3C
	s_add_u32 s82, s82, s61                                    // 00000000FC58: 80523D52
	v_mul_lo_u32 v7, v4, s82                                   // 00000000FC5C: D2850007 0000A504
	v_add_u32_e32 v52, v6, v7                                  // 00000000FC64: 68680F06
	v_readlane_b32 s82, v3, 6                                  // 00000000FC68: D2890052 00010D03
	s_lshr_b32 s61, s82, 24                                    // 00000000FC70: 8F3D9852
	s_and_b32 s82, s82, 0xffffff                               // 00000000FC74: 8652FF52 00FFFFFF
	s_mul_i32 s82, s82, s71                                    // 00000000FC7C: 92524752
	s_mul_i32 s61, s60, s61                                    // 00000000FC80: 923D3D3C
	s_add_u32 s82, s82, s61                                    // 00000000FC84: 80523D52
	v_mul_lo_u32 v6, v5, s82                                   // 00000000FC88: D2850006 0000A505
	v_readlane_b32 s82, v3, 7                                  // 00000000FC90: D2890052 00010F03
	s_lshr_b32 s61, s82, 24                                    // 00000000FC98: 8F3D9852
	s_and_b32 s82, s82, 0xffffff                               // 00000000FC9C: 8652FF52 00FFFFFF
	s_mul_i32 s82, s82, s71                                    // 00000000FCA4: 92524752
	s_mul_i32 s61, s60, s61                                    // 00000000FCA8: 923D3D3C
	s_add_u32 s82, s82, s61                                    // 00000000FCAC: 80523D52
	v_mul_lo_u32 v7, v4, s82                                   // 00000000FCB0: D2850007 0000A504
	v_add_u32_e32 v53, v6, v7                                  // 00000000FCB8: 686A0F06
	v_readlane_b32 s82, v3, 8                                  // 00000000FCBC: D2890052 00011103
	s_lshr_b32 s61, s82, 24                                    // 00000000FCC4: 8F3D9852
	s_and_b32 s82, s82, 0xffffff                               // 00000000FCC8: 8652FF52 00FFFFFF
	s_mul_i32 s82, s82, s71                                    // 00000000FCD0: 92524752
	s_mul_i32 s61, s60, s61                                    // 00000000FCD4: 923D3D3C
	s_add_u32 s82, s82, s61                                    // 00000000FCD8: 80523D52
	v_mul_lo_u32 v6, v5, s82                                   // 00000000FCDC: D2850006 0000A505
	v_readlane_b32 s82, v3, 9                                  // 00000000FCE4: D2890052 00011303
	s_lshr_b32 s61, s82, 24                                    // 00000000FCEC: 8F3D9852
	s_and_b32 s82, s82, 0xffffff                               // 00000000FCF0: 8652FF52 00FFFFFF
	s_mul_i32 s82, s82, s71                                    // 00000000FCF8: 92524752
	s_mul_i32 s61, s60, s61                                    // 00000000FCFC: 923D3D3C
	s_add_u32 s82, s82, s61                                    // 00000000FD00: 80523D52
	v_mul_lo_u32 v7, v4, s82                                   // 00000000FD04: D2850007 0000A504
	v_add_u32_e32 v54, v6, v7                                  // 00000000FD0C: 686C0F06
	v_readlane_b32 s82, v3, 10                                 // 00000000FD10: D2890052 00011503
	s_lshr_b32 s61, s82, 24                                    // 00000000FD18: 8F3D9852
	s_and_b32 s82, s82, 0xffffff                               // 00000000FD1C: 8652FF52 00FFFFFF
	s_mul_i32 s82, s82, s71                                    // 00000000FD24: 92524752
	s_mul_i32 s61, s60, s61                                    // 00000000FD28: 923D3D3C
	s_add_u32 s82, s82, s61                                    // 00000000FD2C: 80523D52
	v_mul_lo_u32 v6, v5, s82                                   // 00000000FD30: D2850006 0000A505
	v_readlane_b32 s82, v3, 11                                 // 00000000FD38: D2890052 00011703
	s_lshr_b32 s61, s82, 24                                    // 00000000FD40: 8F3D9852
	s_and_b32 s82, s82, 0xffffff                               // 00000000FD44: 8652FF52 00FFFFFF
	s_mul_i32 s82, s82, s71                                    // 00000000FD4C: 92524752
	s_mul_i32 s61, s60, s61                                    // 00000000FD50: 923D3D3C
	s_add_u32 s82, s82, s61                                    // 00000000FD54: 80523D52
	v_mul_lo_u32 v7, v4, s82                                   // 00000000FD58: D2850007 0000A504
	v_add_u32_e32 v55, v6, v7                                  // 00000000FD60: 686E0F06
	v_readlane_b32 s82, v3, 12                                 // 00000000FD64: D2890052 00011903
	s_lshr_b32 s61, s82, 24                                    // 00000000FD6C: 8F3D9852
	s_and_b32 s82, s82, 0xffffff                               // 00000000FD70: 8652FF52 00FFFFFF
	s_mul_i32 s82, s82, s71                                    // 00000000FD78: 92524752
	s_mul_i32 s61, s60, s61                                    // 00000000FD7C: 923D3D3C
	s_add_u32 s82, s82, s61                                    // 00000000FD80: 80523D52
	v_mul_lo_u32 v6, v5, s82                                   // 00000000FD84: D2850006 0000A505
	v_readlane_b32 s82, v3, 13                                 // 00000000FD8C: D2890052 00011B03
	s_lshr_b32 s61, s82, 24                                    // 00000000FD94: 8F3D9852
	s_and_b32 s82, s82, 0xffffff                               // 00000000FD98: 8652FF52 00FFFFFF
	s_mul_i32 s82, s82, s71                                    // 00000000FDA0: 92524752
	s_mul_i32 s61, s60, s61                                    // 00000000FDA4: 923D3D3C
	s_add_u32 s82, s82, s61                                    // 00000000FDA8: 80523D52
	v_mul_lo_u32 v7, v4, s82                                   // 00000000FDAC: D2850007 0000A504
	v_add_u32_e32 v56, v6, v7                                  // 00000000FDB4: 68700F06
	v_readlane_b32 s82, v3, 14                                 // 00000000FDB8: D2890052 00011D03
	s_lshr_b32 s61, s82, 24                                    // 00000000FDC0: 8F3D9852
	s_and_b32 s82, s82, 0xffffff                               // 00000000FDC4: 8652FF52 00FFFFFF
	s_mul_i32 s82, s82, s71                                    // 00000000FDCC: 92524752
	s_mul_i32 s61, s60, s61                                    // 00000000FDD0: 923D3D3C
	s_add_u32 s82, s82, s61                                    // 00000000FDD4: 80523D52
	v_mul_lo_u32 v6, v5, s82                                   // 00000000FDD8: D2850006 0000A505
	v_readlane_b32 s82, v3, 15                                 // 00000000FDE0: D2890052 00011F03
	s_lshr_b32 s61, s82, 24                                    // 00000000FDE8: 8F3D9852
	s_and_b32 s82, s82, 0xffffff                               // 00000000FDEC: 8652FF52 00FFFFFF
	s_mul_i32 s82, s82, s71                                    // 00000000FDF4: 92524752
	s_mul_i32 s61, s60, s61                                    // 00000000FDF8: 923D3D3C
	s_add_u32 s82, s82, s61                                    // 00000000FDFC: 80523D52
	v_mul_lo_u32 v7, v4, s82                                   // 00000000FE00: D2850007 0000A504
	v_add_u32_e32 v57, v6, v7                                  // 00000000FE08: 68720F06
	v_readlane_b32 s82, v3, 16                                 // 00000000FE0C: D2890052 00012103
	s_lshr_b32 s61, s82, 24                                    // 00000000FE14: 8F3D9852
	s_and_b32 s82, s82, 0xffffff                               // 00000000FE18: 8652FF52 00FFFFFF
	s_mul_i32 s82, s82, s71                                    // 00000000FE20: 92524752
	s_mul_i32 s61, s60, s61                                    // 00000000FE24: 923D3D3C
	s_add_u32 s82, s82, s61                                    // 00000000FE28: 80523D52
	v_mul_lo_u32 v6, v5, s82                                   // 00000000FE2C: D2850006 0000A505
	v_readlane_b32 s82, v3, 17                                 // 00000000FE34: D2890052 00012303
	s_lshr_b32 s61, s82, 24                                    // 00000000FE3C: 8F3D9852
	s_and_b32 s82, s82, 0xffffff                               // 00000000FE40: 8652FF52 00FFFFFF
	s_mul_i32 s82, s82, s71                                    // 00000000FE48: 92524752
	s_mul_i32 s61, s60, s61                                    // 00000000FE4C: 923D3D3C
	s_add_u32 s82, s82, s61                                    // 00000000FE50: 80523D52
	v_mul_lo_u32 v7, v4, s82                                   // 00000000FE54: D2850007 0000A504
	v_add_u32_e32 v58, v6, v7                                  // 00000000FE5C: 68740F06
	v_readlane_b32 s82, v3, 18                                 // 00000000FE60: D2890052 00012503
	s_lshr_b32 s61, s82, 24                                    // 00000000FE68: 8F3D9852
	s_and_b32 s82, s82, 0xffffff                               // 00000000FE6C: 8652FF52 00FFFFFF
	s_mul_i32 s82, s82, s71                                    // 00000000FE74: 92524752
	s_mul_i32 s61, s60, s61                                    // 00000000FE78: 923D3D3C
	s_add_u32 s82, s82, s61                                    // 00000000FE7C: 80523D52
	v_mul_lo_u32 v6, v5, s82                                   // 00000000FE80: D2850006 0000A505
	v_readlane_b32 s82, v3, 19                                 // 00000000FE88: D2890052 00012703
	s_lshr_b32 s61, s82, 24                                    // 00000000FE90: 8F3D9852
	s_and_b32 s82, s82, 0xffffff                               // 00000000FE94: 8652FF52 00FFFFFF
	s_mul_i32 s82, s82, s71                                    // 00000000FE9C: 92524752
	s_mul_i32 s61, s60, s61                                    // 00000000FEA0: 923D3D3C
	s_add_u32 s82, s82, s61                                    // 00000000FEA4: 80523D52
	v_mul_lo_u32 v7, v4, s82                                   // 00000000FEA8: D2850007 0000A504
	v_add_u32_e32 v59, v6, v7                                  // 00000000FEB0: 68760F06
	v_and_b32_e32 v4, 31, v0                                   // 00000000FEB4: 2608009F
	v_lshrrev_b32_e32 v4, 1, v4                                // 00000000FEB8: 20080881
	s_cmp_eq_u32 s88, 0                                        // 00000000FEBC: BF068058
	s_cselect_b32 s61, 2, 4                                    // 00000000FEC0: 853D8482
	v_mul_lo_u32 v4, v4, s61                                   // 00000000FEC4: D2850004 00007B04
	v_and_b32_e64 v5, v0, 1                                    // 00000000FECC: D1130005 00010300
	v_add_u32_e32 v4, v4, v5                                   // 00000000FED4: 68080B04
	v_lshlrev_b32_e32 v4, 2, v4                                // 00000000FED8: 24080882
	v_add_u32_e32 v50, v50, v4                                 // 00000000FEDC: 68640932
	v_add_u32_e32 v51, v51, v4                                 // 00000000FEE0: 68660933
	v_add_u32_e32 v52, v52, v4                                 // 00000000FEE4: 68680934
	v_add_u32_e32 v53, v53, v4                                 // 00000000FEE8: 686A0935
	v_add_u32_e32 v54, v54, v4                                 // 00000000FEEC: 686C0936
	v_add_u32_e32 v55, v55, v4                                 // 00000000FEF0: 686E0937
	v_add_u32_e32 v56, v56, v4                                 // 00000000FEF4: 68700938
	v_add_u32_e32 v57, v57, v4                                 // 00000000FEF8: 68720939
	v_add_u32_e32 v58, v58, v4                                 // 00000000FEFC: 6874093A
	v_add_u32_e32 v59, v59, v4                                 // 00000000FF00: 6876093B
	s_waitcnt lgkmcnt(0)                                       // 00000000FF04: BF8CC07F
	s_barrier                                                  // 00000000FF08: BF8A0000
	ds_read_b32 v64, v21                                       // 00000000FF0C: D86C0000 40000015
	ds_read_b32 v65, v21 offset:64                             // 00000000FF14: D86C0040 41000015
	ds_read_b32 v66, v21 offset:2176                           // 00000000FF1C: D86C0880 42000015
	ds_read_b32 v67, v21 offset:2240                           // 00000000FF24: D86C08C0 43000015
	ds_read_b32 v68, v21 offset:4352                           // 00000000FF2C: D86C1100 44000015
	ds_read_b32 v69, v21 offset:4416                           // 00000000FF34: D86C1140 45000015
	ds_read_b32 v70, v21 offset:6528                           // 00000000FF3C: D86C1980 46000015
	ds_read_b32 v71, v21 offset:6592                           // 00000000FF44: D86C19C0 47000015
	ds_read_b32 v72, v21 offset:8704                           // 00000000FF4C: D86C2200 48000015
	ds_read_b32 v73, v21 offset:8768                           // 00000000FF54: D86C2240 49000015
	ds_read_b32 v74, v21 offset:10880                          // 00000000FF5C: D86C2A80 4A000015
	ds_read_b32 v75, v21 offset:10944                          // 00000000FF64: D86C2AC0 4B000015
	ds_read_b32 v76, v21 offset:13056                          // 00000000FF6C: D86C3300 4C000015
	ds_read_b32 v77, v21 offset:13120                          // 00000000FF74: D86C3340 4D000015
	ds_read_b32 v78, v21 offset:15232                          // 00000000FF7C: D86C3B80 4E000015
	ds_read_b32 v79, v21 offset:15296                          // 00000000FF84: D86C3BC0 4F000015
	ds_read_b32 v80, v21 offset:17408                          // 00000000FF8C: D86C4400 50000015
	ds_read_b32 v81, v21 offset:17472                          // 00000000FF94: D86C4440 51000015
	ds_read_b32 v82, v21 offset:19584                          // 00000000FF9C: D86C4C80 52000015
	ds_read_b32 v83, v21 offset:19648                          // 00000000FFA4: D86C4CC0 53000015
	ds_read_b32 v84, v21 offset:21760                          // 00000000FFAC: D86C5500 54000015
	ds_read_b32 v85, v21 offset:21824                          // 00000000FFB4: D86C5540 55000015
	ds_read_b32 v86, v21 offset:23936                          // 00000000FFBC: D86C5D80 56000015
	ds_read_b32 v87, v21 offset:24000                          // 00000000FFC4: D86C5DC0 57000015
	ds_read_b32 v88, v21 offset:26112                          // 00000000FFCC: D86C6600 58000015
	ds_read_b32 v89, v21 offset:26176                          // 00000000FFD4: D86C6640 59000015
	ds_read_b32 v90, v21 offset:28288                          // 00000000FFDC: D86C6E80 5A000015
	ds_read_b32 v91, v21 offset:28352                          // 00000000FFE4: D86C6EC0 5B000015
	ds_read_b32 v92, v21 offset:30464                          // 00000000FFEC: D86C7700 5C000015
	ds_read_b32 v93, v21 offset:30528                          // 00000000FFF4: D86C7740 5D000015
	ds_read_b32 v94, v21 offset:32640                          // 00000000FFFC: D86C7F80 5E000015
	ds_read_b32 v95, v21 offset:32704                          // 000000010004: D86C7FC0 5F000015
	ds_read_b32 v96, v21 offset:34816                          // 00000001000C: D86C8800 60000015
	ds_read_b32 v97, v21 offset:34880                          // 000000010014: D86C8840 61000015
	ds_read_b32 v98, v21 offset:36992                          // 00000001001C: D86C9080 62000015
	ds_read_b32 v99, v21 offset:37056                          // 000000010024: D86C90C0 63000015
	ds_read_b32 v100, v21 offset:39168                         // 00000001002C: D86C9900 64000015
	ds_read_b32 v101, v21 offset:39232                         // 000000010034: D86C9940 65000015
	ds_read_b32 v102, v21 offset:41344                         // 00000001003C: D86CA180 66000015
	ds_read_b32 v103, v21 offset:41408                         // 000000010044: D86CA1C0 67000015
	s_waitcnt lgkmcnt(0)                                       // 00000001004C: BF8CC07F
	s_mov_b32 s36, -1                                          // 000000010050: BEA400C1
	s_mov_b32 s37, -1                                          // 000000010054: BEA500C1
	v_mov_b32_e32 v7, 0                                        // 000000010058: 7E0E0280
	s_or_b32 s9, s9, 0x40000                                   // 00000001005C: 8709FF09 00040000
	s_mov_b64 exec, s[36:37]                                   // 000000010064: BEFE0124
	v_mov_b32_e32 v6, v50                                      // 000000010068: 7E0C0332
	s_mov_b64 s[60:61], 0                                      // 00000001006C: BEBC0180
	v_readlane_b32 s82, v3, 0                                  // 000000010070: D2890052 00010103
	s_and_b32 s82, s82, 0xffffff                               // 000000010078: 8652FF52 00FFFFFF
	s_cmp_lt_u32 s82, s66                                      // 000000010080: BF0A4252
	s_cselect_b32 s20, s36, s60                                // 000000010084: 85143C24
	v_readlane_b32 s82, v3, 1                                  // 000000010088: D2890052 00010303
	s_and_b32 s82, s82, 0xffffff                               // 000000010090: 8652FF52 00FFFFFF
	s_cmp_lt_u32 s82, s66                                      // 000000010098: BF0A4252
	s_cselect_b32 s21, s36, s60                                // 00000001009C: 85153C24
	s_mov_b64 exec, s[20:21]                                   // 0000000100A0: BEFE0114
	buffer_store_dword v64, v6, s[8:11], 0 offen               // 0000000100A4: E0701000 80024006
	buffer_store_dword v66, v6, s[8:11], 0 offen offset:128    // 0000000100AC: E0701080 80024206
	buffer_store_dword v68, v6, s[8:11], 0 offen offset:256    // 0000000100B4: E0701100 80024406
	buffer_store_dword v70, v6, s[8:11], 0 offen offset:384    // 0000000100BC: E0701180 80024606
	s_mov_b64 exec, s[36:37]                                   // 0000000100C4: BEFE0124
	v_mov_b32_e32 v6, v51                                      // 0000000100C8: 7E0C0333
	s_mov_b64 s[60:61], 0                                      // 0000000100CC: BEBC0180
	v_readlane_b32 s82, v3, 2                                  // 0000000100D0: D2890052 00010503
	s_and_b32 s82, s82, 0xffffff                               // 0000000100D8: 8652FF52 00FFFFFF
	s_cmp_lt_u32 s82, s66                                      // 0000000100E0: BF0A4252
	s_cselect_b32 s20, s36, s60                                // 0000000100E4: 85143C24
	v_readlane_b32 s82, v3, 3                                  // 0000000100E8: D2890052 00010703
	s_and_b32 s82, s82, 0xffffff                               // 0000000100F0: 8652FF52 00FFFFFF
	s_cmp_lt_u32 s82, s66                                      // 0000000100F8: BF0A4252
	s_cselect_b32 s21, s36, s60                                // 0000000100FC: 85153C24
	s_mov_b64 exec, s[20:21]                                   // 000000010100: BEFE0114
	buffer_store_dword v65, v6, s[8:11], 0 offen               // 000000010104: E0701000 80024106
	buffer_store_dword v67, v6, s[8:11], 0 offen offset:128    // 00000001010C: E0701080 80024306
	buffer_store_dword v69, v6, s[8:11], 0 offen offset:256    // 000000010114: E0701100 80024506
	buffer_store_dword v71, v6, s[8:11], 0 offen offset:384    // 00000001011C: E0701180 80024706
	s_mov_b64 exec, s[36:37]                                   // 000000010124: BEFE0124
	v_mov_b32_e32 v6, v52                                      // 000000010128: 7E0C0334
	s_mov_b64 s[60:61], 0                                      // 00000001012C: BEBC0180
	v_readlane_b32 s82, v3, 4                                  // 000000010130: D2890052 00010903
	s_and_b32 s82, s82, 0xffffff                               // 000000010138: 8652FF52 00FFFFFF
	s_cmp_lt_u32 s82, s66                                      // 000000010140: BF0A4252
	s_cselect_b32 s20, s36, s60                                // 000000010144: 85143C24
	v_readlane_b32 s82, v3, 5                                  // 000000010148: D2890052 00010B03
	s_and_b32 s82, s82, 0xffffff                               // 000000010150: 8652FF52 00FFFFFF
	s_cmp_lt_u32 s82, s66                                      // 000000010158: BF0A4252
	s_cselect_b32 s21, s36, s60                                // 00000001015C: 85153C24
	s_mov_b64 exec, s[20:21]                                   // 000000010160: BEFE0114
	buffer_store_dword v72, v6, s[8:11], 0 offen               // 000000010164: E0701000 80024806
	buffer_store_dword v74, v6, s[8:11], 0 offen offset:128    // 00000001016C: E0701080 80024A06
	buffer_store_dword v76, v6, s[8:11], 0 offen offset:256    // 000000010174: E0701100 80024C06
	buffer_store_dword v78, v6, s[8:11], 0 offen offset:384    // 00000001017C: E0701180 80024E06
	s_mov_b64 exec, s[36:37]                                   // 000000010184: BEFE0124
	v_mov_b32_e32 v6, v53                                      // 000000010188: 7E0C0335
	s_mov_b64 s[60:61], 0                                      // 00000001018C: BEBC0180
	v_readlane_b32 s82, v3, 6                                  // 000000010190: D2890052 00010D03
	s_and_b32 s82, s82, 0xffffff                               // 000000010198: 8652FF52 00FFFFFF
	s_cmp_lt_u32 s82, s66                                      // 0000000101A0: BF0A4252
	s_cselect_b32 s20, s36, s60                                // 0000000101A4: 85143C24
	v_readlane_b32 s82, v3, 7                                  // 0000000101A8: D2890052 00010F03
	s_and_b32 s82, s82, 0xffffff                               // 0000000101B0: 8652FF52 00FFFFFF
	s_cmp_lt_u32 s82, s66                                      // 0000000101B8: BF0A4252
	s_cselect_b32 s21, s36, s60                                // 0000000101BC: 85153C24
	s_mov_b64 exec, s[20:21]                                   // 0000000101C0: BEFE0114
	buffer_store_dword v73, v6, s[8:11], 0 offen               // 0000000101C4: E0701000 80024906
	buffer_store_dword v75, v6, s[8:11], 0 offen offset:128    // 0000000101CC: E0701080 80024B06
	buffer_store_dword v77, v6, s[8:11], 0 offen offset:256    // 0000000101D4: E0701100 80024D06
	buffer_store_dword v79, v6, s[8:11], 0 offen offset:384    // 0000000101DC: E0701180 80024F06
	s_mov_b64 exec, s[36:37]                                   // 0000000101E4: BEFE0124
	v_mov_b32_e32 v6, v54                                      // 0000000101E8: 7E0C0336
	s_mov_b64 s[60:61], 0                                      // 0000000101EC: BEBC0180
	v_readlane_b32 s82, v3, 8                                  // 0000000101F0: D2890052 00011103
	s_and_b32 s82, s82, 0xffffff                               // 0000000101F8: 8652FF52 00FFFFFF
	s_cmp_lt_u32 s82, s66                                      // 000000010200: BF0A4252
	s_cselect_b32 s20, s36, s60                                // 000000010204: 85143C24
	v_readlane_b32 s82, v3, 9                                  // 000000010208: D2890052 00011303
	s_and_b32 s82, s82, 0xffffff                               // 000000010210: 8652FF52 00FFFFFF
	s_cmp_lt_u32 s82, s66                                      // 000000010218: BF0A4252
	s_cselect_b32 s21, s36, s60                                // 00000001021C: 85153C24
	s_mov_b64 exec, s[20:21]                                   // 000000010220: BEFE0114
	buffer_store_dword v80, v6, s[8:11], 0 offen               // 000000010224: E0701000 80025006
	buffer_store_dword v82, v6, s[8:11], 0 offen offset:128    // 00000001022C: E0701080 80025206
	buffer_store_dword v84, v6, s[8:11], 0 offen offset:256    // 000000010234: E0701100 80025406
	buffer_store_dword v86, v6, s[8:11], 0 offen offset:384    // 00000001023C: E0701180 80025606
	s_mov_b64 exec, s[36:37]                                   // 000000010244: BEFE0124
	v_mov_b32_e32 v6, v55                                      // 000000010248: 7E0C0337
	s_mov_b64 s[60:61], 0                                      // 00000001024C: BEBC0180
	v_readlane_b32 s82, v3, 10                                 // 000000010250: D2890052 00011503
	s_and_b32 s82, s82, 0xffffff                               // 000000010258: 8652FF52 00FFFFFF
	s_cmp_lt_u32 s82, s66                                      // 000000010260: BF0A4252
	s_cselect_b32 s20, s36, s60                                // 000000010264: 85143C24
	v_readlane_b32 s82, v3, 11                                 // 000000010268: D2890052 00011703
	s_and_b32 s82, s82, 0xffffff                               // 000000010270: 8652FF52 00FFFFFF
	s_cmp_lt_u32 s82, s66                                      // 000000010278: BF0A4252
	s_cselect_b32 s21, s36, s60                                // 00000001027C: 85153C24
	s_mov_b64 exec, s[20:21]                                   // 000000010280: BEFE0114
	buffer_store_dword v81, v6, s[8:11], 0 offen               // 000000010284: E0701000 80025106
	buffer_store_dword v83, v6, s[8:11], 0 offen offset:128    // 00000001028C: E0701080 80025306
	buffer_store_dword v85, v6, s[8:11], 0 offen offset:256    // 000000010294: E0701100 80025506
	buffer_store_dword v87, v6, s[8:11], 0 offen offset:384    // 00000001029C: E0701180 80025706
	s_mov_b64 exec, s[36:37]                                   // 0000000102A4: BEFE0124
	v_mov_b32_e32 v6, v56                                      // 0000000102A8: 7E0C0338
	s_mov_b64 s[60:61], 0                                      // 0000000102AC: BEBC0180
	v_readlane_b32 s82, v3, 12                                 // 0000000102B0: D2890052 00011903
	s_and_b32 s82, s82, 0xffffff                               // 0000000102B8: 8652FF52 00FFFFFF
	s_cmp_lt_u32 s82, s66                                      // 0000000102C0: BF0A4252
	s_cselect_b32 s20, s36, s60                                // 0000000102C4: 85143C24
	v_readlane_b32 s82, v3, 13                                 // 0000000102C8: D2890052 00011B03
	s_and_b32 s82, s82, 0xffffff                               // 0000000102D0: 8652FF52 00FFFFFF
	s_cmp_lt_u32 s82, s66                                      // 0000000102D8: BF0A4252
	s_cselect_b32 s21, s36, s60                                // 0000000102DC: 85153C24
	s_mov_b64 exec, s[20:21]                                   // 0000000102E0: BEFE0114
	buffer_store_dword v88, v6, s[8:11], 0 offen               // 0000000102E4: E0701000 80025806
	buffer_store_dword v90, v6, s[8:11], 0 offen offset:128    // 0000000102EC: E0701080 80025A06
	buffer_store_dword v92, v6, s[8:11], 0 offen offset:256    // 0000000102F4: E0701100 80025C06
	buffer_store_dword v94, v6, s[8:11], 0 offen offset:384    // 0000000102FC: E0701180 80025E06
	s_mov_b64 exec, s[36:37]                                   // 000000010304: BEFE0124
	v_mov_b32_e32 v6, v57                                      // 000000010308: 7E0C0339
	s_mov_b64 s[60:61], 0                                      // 00000001030C: BEBC0180
	v_readlane_b32 s82, v3, 14                                 // 000000010310: D2890052 00011D03
	s_and_b32 s82, s82, 0xffffff                               // 000000010318: 8652FF52 00FFFFFF
	s_cmp_lt_u32 s82, s66                                      // 000000010320: BF0A4252
	s_cselect_b32 s20, s36, s60                                // 000000010324: 85143C24
	v_readlane_b32 s82, v3, 15                                 // 000000010328: D2890052 00011F03
	s_and_b32 s82, s82, 0xffffff                               // 000000010330: 8652FF52 00FFFFFF
	s_cmp_lt_u32 s82, s66                                      // 000000010338: BF0A4252
	s_cselect_b32 s21, s36, s60                                // 00000001033C: 85153C24
	s_mov_b64 exec, s[20:21]                                   // 000000010340: BEFE0114
	buffer_store_dword v89, v6, s[8:11], 0 offen               // 000000010344: E0701000 80025906
	buffer_store_dword v91, v6, s[8:11], 0 offen offset:128    // 00000001034C: E0701080 80025B06
	buffer_store_dword v93, v6, s[8:11], 0 offen offset:256    // 000000010354: E0701100 80025D06
	buffer_store_dword v95, v6, s[8:11], 0 offen offset:384    // 00000001035C: E0701180 80025F06
	s_mov_b64 exec, s[36:37]                                   // 000000010364: BEFE0124
	v_mov_b32_e32 v6, v58                                      // 000000010368: 7E0C033A
	s_mov_b64 s[60:61], 0                                      // 00000001036C: BEBC0180
	v_readlane_b32 s82, v3, 16                                 // 000000010370: D2890052 00012103
	s_and_b32 s82, s82, 0xffffff                               // 000000010378: 8652FF52 00FFFFFF
	s_cmp_lt_u32 s82, s66                                      // 000000010380: BF0A4252
	s_cselect_b32 s20, s36, s60                                // 000000010384: 85143C24
	v_readlane_b32 s82, v3, 17                                 // 000000010388: D2890052 00012303
	s_and_b32 s82, s82, 0xffffff                               // 000000010390: 8652FF52 00FFFFFF
	s_cmp_lt_u32 s82, s66                                      // 000000010398: BF0A4252
	s_cselect_b32 s21, s36, s60                                // 00000001039C: 85153C24
	s_mov_b64 exec, s[20:21]                                   // 0000000103A0: BEFE0114
	buffer_store_dword v96, v6, s[8:11], 0 offen               // 0000000103A4: E0701000 80026006
	buffer_store_dword v98, v6, s[8:11], 0 offen offset:128    // 0000000103AC: E0701080 80026206
	buffer_store_dword v100, v6, s[8:11], 0 offen offset:256   // 0000000103B4: E0701100 80026406
	buffer_store_dword v102, v6, s[8:11], 0 offen offset:384   // 0000000103BC: E0701180 80026606
	s_mov_b64 exec, s[36:37]                                   // 0000000103C4: BEFE0124
	v_mov_b32_e32 v6, v59                                      // 0000000103C8: 7E0C033B
	s_mov_b64 s[60:61], 0                                      // 0000000103CC: BEBC0180
	v_readlane_b32 s82, v3, 18                                 // 0000000103D0: D2890052 00012503
	s_and_b32 s82, s82, 0xffffff                               // 0000000103D8: 8652FF52 00FFFFFF
	s_cmp_lt_u32 s82, s66                                      // 0000000103E0: BF0A4252
	s_cselect_b32 s20, s36, s60                                // 0000000103E4: 85143C24
	v_readlane_b32 s82, v3, 19                                 // 0000000103E8: D2890052 00012703
	s_and_b32 s82, s82, 0xffffff                               // 0000000103F0: 8652FF52 00FFFFFF
	s_cmp_lt_u32 s82, s66                                      // 0000000103F8: BF0A4252
	s_cselect_b32 s21, s36, s60                                // 0000000103FC: 85153C24
	s_mov_b64 exec, s[20:21]                                   // 000000010400: BEFE0114
	buffer_store_dword v97, v6, s[8:11], 0 offen               // 000000010404: E0701000 80026106
	buffer_store_dword v99, v6, s[8:11], 0 offen offset:128    // 00000001040C: E0701080 80026306
	buffer_store_dword v101, v6, s[8:11], 0 offen offset:256   // 000000010414: E0701100 80026506
	buffer_store_dword v103, v6, s[8:11], 0 offen offset:384   // 00000001041C: E0701180 80026706
	s_mov_b64 exec, s[36:37]                                   // 000000010424: BEFE0124
	s_branch label_3D34                                        // 000000010428: BF8206A6

000000000001042c <label_368E>:
	ds_write_b64 v20, v[64:65]                                 // 00000001042C: D89A0000 00004014
	ds_write_b64 v20, v[68:69] offset:8704                     // 000000010434: D89A2200 00004414
	ds_write_b64 v20, v[72:73] offset:17408                    // 00000001043C: D89A4400 00004814
	ds_write_b64 v20, v[76:77] offset:26112                    // 000000010444: D89A6600 00004C14
	ds_write_b64 v20, v[80:81] offset:34816                    // 00000001044C: D89A8800 00005014
	ds_write_b64 v20, v[84:85] offset:2176                     // 000000010454: D89A0880 00005414
	ds_write_b64 v20, v[88:89] offset:10880                    // 00000001045C: D89A2A80 00005814
	ds_write_b64 v20, v[92:93] offset:19584                    // 000000010464: D89A4C80 00005C14
	ds_write_b64 v20, v[96:97] offset:28288                    // 00000001046C: D89A6E80 00006014
	ds_write_b64 v20, v[100:101] offset:36992                  // 000000010474: D89A9080 00006414
	ds_write_b64 v20, v[104:105] offset:4352                   // 00000001047C: D89A1100 00006814
	ds_write_b64 v20, v[108:109] offset:13056                  // 000000010484: D89A3300 00006C14
	ds_write_b64 v20, v[112:113] offset:21760                  // 00000001048C: D89A5500 00007014
	ds_write_b64 v20, v[116:117] offset:30464                  // 000000010494: D89A7700 00007414
	ds_write_b64 v20, v[120:121] offset:39168                  // 00000001049C: D89A9900 00007814
	ds_write_b64 v20, v[124:125] offset:6528                   // 0000000104A4: D89A1980 00007C14
	ds_write_b64 v20, v[128:129] offset:15232                  // 0000000104AC: D89A3B80 00008014
	ds_write_b64 v20, v[132:133] offset:23936                  // 0000000104B4: D89A5D80 00008414
	ds_write_b64 v20, v[136:137] offset:32640                  // 0000000104BC: D89A7F80 00008814
	ds_write_b64 v20, v[140:141] offset:41344                  // 0000000104C4: D89AA180 00008C14
	v_lshrrev_b32_e32 v4, 5, v0                                // 0000000104CC: 20080085
	v_xor_b32_e32 v5, 1, v4                                    // 0000000104D0: 2A0A0881
	s_mul_i32 s60, s65, 2                                      // 0000000104D4: 923C8241
	s_cmp_eq_u32 s88, 0                                        // 0000000104D8: BF068058
	s_cselect_b32 s61, 1, 4                                    // 0000000104DC: 853D8481
	s_mul_i32 s60, s61, s60                                    // 0000000104E0: 923C3C3D
	v_readlane_b32 s82, v3, 0                                  // 0000000104E4: D2890052 00010103
	s_lshr_b32 s61, s82, 24                                    // 0000000104EC: 8F3D9852
	s_and_b32 s82, s82, 0xffffff                               // 0000000104F0: 8652FF52 00FFFFFF
	s_mul_i32 s82, s82, s71                                    // 0000000104F8: 92524752
	s_mul_i32 s61, s60, s61                                    // 0000000104FC: 923D3D3C
	s_add_u32 s82, s82, s61                                    // 000000010500: 80523D52
	v_mul_lo_u32 v6, v5, s82                                   // 000000010504: D2850006 0000A505
	v_readlane_b32 s82, v3, 1                                  // 00000001050C: D2890052 00010303
	s_lshr_b32 s61, s82, 24                                    // 000000010514: 8F3D9852
	s_and_b32 s82, s82, 0xffffff                               // 000000010518: 8652FF52 00FFFFFF
	s_mul_i32 s82, s82, s71                                    // 000000010520: 92524752
	s_mul_i32 s61, s60, s61                                    // 000000010524: 923D3D3C
	s_add_u32 s82, s82, s61                                    // 000000010528: 80523D52
	v_mul_lo_u32 v7, v4, s82                                   // 00000001052C: D2850007 0000A504
	v_add_u32_e32 v50, v6, v7                                  // 000000010534: 68640F06
	v_readlane_b32 s82, v3, 2                                  // 000000010538: D2890052 00010503
	s_lshr_b32 s61, s82, 24                                    // 000000010540: 8F3D9852
	s_and_b32 s82, s82, 0xffffff                               // 000000010544: 8652FF52 00FFFFFF
	s_mul_i32 s82, s82, s71                                    // 00000001054C: 92524752
	s_mul_i32 s61, s60, s61                                    // 000000010550: 923D3D3C
	s_add_u32 s82, s82, s61                                    // 000000010554: 80523D52
	v_mul_lo_u32 v6, v5, s82                                   // 000000010558: D2850006 0000A505
	v_readlane_b32 s82, v3, 3                                  // 000000010560: D2890052 00010703
	s_lshr_b32 s61, s82, 24                                    // 000000010568: 8F3D9852
	s_and_b32 s82, s82, 0xffffff                               // 00000001056C: 8652FF52 00FFFFFF
	s_mul_i32 s82, s82, s71                                    // 000000010574: 92524752
	s_mul_i32 s61, s60, s61                                    // 000000010578: 923D3D3C
	s_add_u32 s82, s82, s61                                    // 00000001057C: 80523D52
	v_mul_lo_u32 v7, v4, s82                                   // 000000010580: D2850007 0000A504
	v_add_u32_e32 v51, v6, v7                                  // 000000010588: 68660F06
	v_readlane_b32 s82, v3, 4                                  // 00000001058C: D2890052 00010903
	s_lshr_b32 s61, s82, 24                                    // 000000010594: 8F3D9852
	s_and_b32 s82, s82, 0xffffff                               // 000000010598: 8652FF52 00FFFFFF
	s_mul_i32 s82, s82, s71                                    // 0000000105A0: 92524752
	s_mul_i32 s61, s60, s61                                    // 0000000105A4: 923D3D3C
	s_add_u32 s82, s82, s61                                    // 0000000105A8: 80523D52
	v_mul_lo_u32 v6, v5, s82                                   // 0000000105AC: D2850006 0000A505
	v_readlane_b32 s82, v3, 5                                  // 0000000105B4: D2890052 00010B03
	s_lshr_b32 s61, s82, 24                                    // 0000000105BC: 8F3D9852
	s_and_b32 s82, s82, 0xffffff                               // 0000000105C0: 8652FF52 00FFFFFF
	s_mul_i32 s82, s82, s71                                    // 0000000105C8: 92524752
	s_mul_i32 s61, s60, s61                                    // 0000000105CC: 923D3D3C
	s_add_u32 s82, s82, s61                                    // 0000000105D0: 80523D52
	v_mul_lo_u32 v7, v4, s82                                   // 0000000105D4: D2850007 0000A504
	v_add_u32_e32 v52, v6, v7                                  // 0000000105DC: 68680F06
	v_readlane_b32 s82, v3, 6                                  // 0000000105E0: D2890052 00010D03
	s_lshr_b32 s61, s82, 24                                    // 0000000105E8: 8F3D9852
	s_and_b32 s82, s82, 0xffffff                               // 0000000105EC: 8652FF52 00FFFFFF
	s_mul_i32 s82, s82, s71                                    // 0000000105F4: 92524752
	s_mul_i32 s61, s60, s61                                    // 0000000105F8: 923D3D3C
	s_add_u32 s82, s82, s61                                    // 0000000105FC: 80523D52
	v_mul_lo_u32 v6, v5, s82                                   // 000000010600: D2850006 0000A505
	v_readlane_b32 s82, v3, 7                                  // 000000010608: D2890052 00010F03
	s_lshr_b32 s61, s82, 24                                    // 000000010610: 8F3D9852
	s_and_b32 s82, s82, 0xffffff                               // 000000010614: 8652FF52 00FFFFFF
	s_mul_i32 s82, s82, s71                                    // 00000001061C: 92524752
	s_mul_i32 s61, s60, s61                                    // 000000010620: 923D3D3C
	s_add_u32 s82, s82, s61                                    // 000000010624: 80523D52
	v_mul_lo_u32 v7, v4, s82                                   // 000000010628: D2850007 0000A504
	v_add_u32_e32 v53, v6, v7                                  // 000000010630: 686A0F06
	v_readlane_b32 s82, v3, 8                                  // 000000010634: D2890052 00011103
	s_lshr_b32 s61, s82, 24                                    // 00000001063C: 8F3D9852
	s_and_b32 s82, s82, 0xffffff                               // 000000010640: 8652FF52 00FFFFFF
	s_mul_i32 s82, s82, s71                                    // 000000010648: 92524752
	s_mul_i32 s61, s60, s61                                    // 00000001064C: 923D3D3C
	s_add_u32 s82, s82, s61                                    // 000000010650: 80523D52
	v_mul_lo_u32 v6, v5, s82                                   // 000000010654: D2850006 0000A505
	v_readlane_b32 s82, v3, 9                                  // 00000001065C: D2890052 00011303
	s_lshr_b32 s61, s82, 24                                    // 000000010664: 8F3D9852
	s_and_b32 s82, s82, 0xffffff                               // 000000010668: 8652FF52 00FFFFFF
	s_mul_i32 s82, s82, s71                                    // 000000010670: 92524752
	s_mul_i32 s61, s60, s61                                    // 000000010674: 923D3D3C
	s_add_u32 s82, s82, s61                                    // 000000010678: 80523D52
	v_mul_lo_u32 v7, v4, s82                                   // 00000001067C: D2850007 0000A504
	v_add_u32_e32 v54, v6, v7                                  // 000000010684: 686C0F06
	v_readlane_b32 s82, v3, 10                                 // 000000010688: D2890052 00011503
	s_lshr_b32 s61, s82, 24                                    // 000000010690: 8F3D9852
	s_and_b32 s82, s82, 0xffffff                               // 000000010694: 8652FF52 00FFFFFF
	s_mul_i32 s82, s82, s71                                    // 00000001069C: 92524752
	s_mul_i32 s61, s60, s61                                    // 0000000106A0: 923D3D3C
	s_add_u32 s82, s82, s61                                    // 0000000106A4: 80523D52
	v_mul_lo_u32 v6, v5, s82                                   // 0000000106A8: D2850006 0000A505
	v_readlane_b32 s82, v3, 11                                 // 0000000106B0: D2890052 00011703
	s_lshr_b32 s61, s82, 24                                    // 0000000106B8: 8F3D9852
	s_and_b32 s82, s82, 0xffffff                               // 0000000106BC: 8652FF52 00FFFFFF
	s_mul_i32 s82, s82, s71                                    // 0000000106C4: 92524752
	s_mul_i32 s61, s60, s61                                    // 0000000106C8: 923D3D3C
	s_add_u32 s82, s82, s61                                    // 0000000106CC: 80523D52
	v_mul_lo_u32 v7, v4, s82                                   // 0000000106D0: D2850007 0000A504
	v_add_u32_e32 v55, v6, v7                                  // 0000000106D8: 686E0F06
	v_readlane_b32 s82, v3, 12                                 // 0000000106DC: D2890052 00011903
	s_lshr_b32 s61, s82, 24                                    // 0000000106E4: 8F3D9852
	s_and_b32 s82, s82, 0xffffff                               // 0000000106E8: 8652FF52 00FFFFFF
	s_mul_i32 s82, s82, s71                                    // 0000000106F0: 92524752
	s_mul_i32 s61, s60, s61                                    // 0000000106F4: 923D3D3C
	s_add_u32 s82, s82, s61                                    // 0000000106F8: 80523D52
	v_mul_lo_u32 v6, v5, s82                                   // 0000000106FC: D2850006 0000A505
	v_readlane_b32 s82, v3, 13                                 // 000000010704: D2890052 00011B03
	s_lshr_b32 s61, s82, 24                                    // 00000001070C: 8F3D9852
	s_and_b32 s82, s82, 0xffffff                               // 000000010710: 8652FF52 00FFFFFF
	s_mul_i32 s82, s82, s71                                    // 000000010718: 92524752
	s_mul_i32 s61, s60, s61                                    // 00000001071C: 923D3D3C
	s_add_u32 s82, s82, s61                                    // 000000010720: 80523D52
	v_mul_lo_u32 v7, v4, s82                                   // 000000010724: D2850007 0000A504
	v_add_u32_e32 v56, v6, v7                                  // 00000001072C: 68700F06
	v_readlane_b32 s82, v3, 14                                 // 000000010730: D2890052 00011D03
	s_lshr_b32 s61, s82, 24                                    // 000000010738: 8F3D9852
	s_and_b32 s82, s82, 0xffffff                               // 00000001073C: 8652FF52 00FFFFFF
	s_mul_i32 s82, s82, s71                                    // 000000010744: 92524752
	s_mul_i32 s61, s60, s61                                    // 000000010748: 923D3D3C
	s_add_u32 s82, s82, s61                                    // 00000001074C: 80523D52
	v_mul_lo_u32 v6, v5, s82                                   // 000000010750: D2850006 0000A505
	v_readlane_b32 s82, v3, 15                                 // 000000010758: D2890052 00011F03
	s_lshr_b32 s61, s82, 24                                    // 000000010760: 8F3D9852
	s_and_b32 s82, s82, 0xffffff                               // 000000010764: 8652FF52 00FFFFFF
	s_mul_i32 s82, s82, s71                                    // 00000001076C: 92524752
	s_mul_i32 s61, s60, s61                                    // 000000010770: 923D3D3C
	s_add_u32 s82, s82, s61                                    // 000000010774: 80523D52
	v_mul_lo_u32 v7, v4, s82                                   // 000000010778: D2850007 0000A504
	v_add_u32_e32 v57, v6, v7                                  // 000000010780: 68720F06
	v_readlane_b32 s82, v3, 16                                 // 000000010784: D2890052 00012103
	s_lshr_b32 s61, s82, 24                                    // 00000001078C: 8F3D9852
	s_and_b32 s82, s82, 0xffffff                               // 000000010790: 8652FF52 00FFFFFF
	s_mul_i32 s82, s82, s71                                    // 000000010798: 92524752
	s_mul_i32 s61, s60, s61                                    // 00000001079C: 923D3D3C
	s_add_u32 s82, s82, s61                                    // 0000000107A0: 80523D52
	v_mul_lo_u32 v6, v5, s82                                   // 0000000107A4: D2850006 0000A505
	v_readlane_b32 s82, v3, 17                                 // 0000000107AC: D2890052 00012303
	s_lshr_b32 s61, s82, 24                                    // 0000000107B4: 8F3D9852
	s_and_b32 s82, s82, 0xffffff                               // 0000000107B8: 8652FF52 00FFFFFF
	s_mul_i32 s82, s82, s71                                    // 0000000107C0: 92524752
	s_mul_i32 s61, s60, s61                                    // 0000000107C4: 923D3D3C
	s_add_u32 s82, s82, s61                                    // 0000000107C8: 80523D52
	v_mul_lo_u32 v7, v4, s82                                   // 0000000107CC: D2850007 0000A504
	v_add_u32_e32 v58, v6, v7                                  // 0000000107D4: 68740F06
	v_readlane_b32 s82, v3, 18                                 // 0000000107D8: D2890052 00012503
	s_lshr_b32 s61, s82, 24                                    // 0000000107E0: 8F3D9852
	s_and_b32 s82, s82, 0xffffff                               // 0000000107E4: 8652FF52 00FFFFFF
	s_mul_i32 s82, s82, s71                                    // 0000000107EC: 92524752
	s_mul_i32 s61, s60, s61                                    // 0000000107F0: 923D3D3C
	s_add_u32 s82, s82, s61                                    // 0000000107F4: 80523D52
	v_mul_lo_u32 v6, v5, s82                                   // 0000000107F8: D2850006 0000A505
	v_readlane_b32 s82, v3, 19                                 // 000000010800: D2890052 00012703
	s_lshr_b32 s61, s82, 24                                    // 000000010808: 8F3D9852
	s_and_b32 s82, s82, 0xffffff                               // 00000001080C: 8652FF52 00FFFFFF
	s_mul_i32 s82, s82, s71                                    // 000000010814: 92524752
	s_mul_i32 s61, s60, s61                                    // 000000010818: 923D3D3C
	s_add_u32 s82, s82, s61                                    // 00000001081C: 80523D52
	v_mul_lo_u32 v7, v4, s82                                   // 000000010820: D2850007 0000A504
	v_add_u32_e32 v59, v6, v7                                  // 000000010828: 68760F06
	v_and_b32_e32 v4, 31, v0                                   // 00000001082C: 2608009F
	v_lshrrev_b32_e32 v4, 1, v4                                // 000000010830: 20080881
	s_cmp_eq_u32 s88, 0                                        // 000000010834: BF068058
	s_cselect_b32 s61, 2, 4                                    // 000000010838: 853D8482
	v_mul_lo_u32 v4, v4, s61                                   // 00000001083C: D2850004 00007B04
	v_and_b32_e64 v5, v0, 1                                    // 000000010844: D1130005 00010300
	v_add_u32_e32 v4, v4, v5                                   // 00000001084C: 68080B04
	v_lshlrev_b32_e32 v4, 2, v4                                // 000000010850: 24080882
	v_add_u32_e32 v50, v50, v4                                 // 000000010854: 68640932
	v_add_u32_e32 v51, v51, v4                                 // 000000010858: 68660933
	v_add_u32_e32 v52, v52, v4                                 // 00000001085C: 68680934
	v_add_u32_e32 v53, v53, v4                                 // 000000010860: 686A0935
	v_add_u32_e32 v54, v54, v4                                 // 000000010864: 686C0936
	v_add_u32_e32 v55, v55, v4                                 // 000000010868: 686E0937
	v_add_u32_e32 v56, v56, v4                                 // 00000001086C: 68700938
	v_add_u32_e32 v57, v57, v4                                 // 000000010870: 68720939
	v_add_u32_e32 v58, v58, v4                                 // 000000010874: 6874093A
	v_add_u32_e32 v59, v59, v4                                 // 000000010878: 6876093B
	s_waitcnt lgkmcnt(0)                                       // 00000001087C: BF8CC07F
	s_barrier                                                  // 000000010880: BF8A0000
	ds_read_b32 v64, v21                                       // 000000010884: D86C0000 40000015
	ds_read_b32 v65, v21 offset:64                             // 00000001088C: D86C0040 41000015
	ds_read_b32 v68, v21 offset:2176                           // 000000010894: D86C0880 44000015
	ds_read_b32 v69, v21 offset:2240                           // 00000001089C: D86C08C0 45000015
	ds_read_b32 v72, v21 offset:4352                           // 0000000108A4: D86C1100 48000015
	ds_read_b32 v73, v21 offset:4416                           // 0000000108AC: D86C1140 49000015
	ds_read_b32 v76, v21 offset:6528                           // 0000000108B4: D86C1980 4C000015
	ds_read_b32 v77, v21 offset:6592                           // 0000000108BC: D86C19C0 4D000015
	ds_read_b32 v80, v21 offset:8704                           // 0000000108C4: D86C2200 50000015
	ds_read_b32 v81, v21 offset:8768                           // 0000000108CC: D86C2240 51000015
	ds_read_b32 v84, v21 offset:10880                          // 0000000108D4: D86C2A80 54000015
	ds_read_b32 v85, v21 offset:10944                          // 0000000108DC: D86C2AC0 55000015
	ds_read_b32 v88, v21 offset:13056                          // 0000000108E4: D86C3300 58000015
	ds_read_b32 v89, v21 offset:13120                          // 0000000108EC: D86C3340 59000015
	ds_read_b32 v92, v21 offset:15232                          // 0000000108F4: D86C3B80 5C000015
	ds_read_b32 v93, v21 offset:15296                          // 0000000108FC: D86C3BC0 5D000015
	ds_read_b32 v96, v21 offset:17408                          // 000000010904: D86C4400 60000015
	ds_read_b32 v97, v21 offset:17472                          // 00000001090C: D86C4440 61000015
	ds_read_b32 v100, v21 offset:19584                         // 000000010914: D86C4C80 64000015
	ds_read_b32 v101, v21 offset:19648                         // 00000001091C: D86C4CC0 65000015
	ds_read_b32 v104, v21 offset:21760                         // 000000010924: D86C5500 68000015
	ds_read_b32 v105, v21 offset:21824                         // 00000001092C: D86C5540 69000015
	ds_read_b32 v108, v21 offset:23936                         // 000000010934: D86C5D80 6C000015
	ds_read_b32 v109, v21 offset:24000                         // 00000001093C: D86C5DC0 6D000015
	ds_read_b32 v112, v21 offset:26112                         // 000000010944: D86C6600 70000015
	ds_read_b32 v113, v21 offset:26176                         // 00000001094C: D86C6640 71000015
	ds_read_b32 v116, v21 offset:28288                         // 000000010954: D86C6E80 74000015
	ds_read_b32 v117, v21 offset:28352                         // 00000001095C: D86C6EC0 75000015
	ds_read_b32 v120, v21 offset:30464                         // 000000010964: D86C7700 78000015
	ds_read_b32 v121, v21 offset:30528                         // 00000001096C: D86C7740 79000015
	ds_read_b32 v124, v21 offset:32640                         // 000000010974: D86C7F80 7C000015
	ds_read_b32 v125, v21 offset:32704                         // 00000001097C: D86C7FC0 7D000015
	ds_read_b32 v128, v21 offset:34816                         // 000000010984: D86C8800 80000015
	ds_read_b32 v129, v21 offset:34880                         // 00000001098C: D86C8840 81000015
	ds_read_b32 v132, v21 offset:36992                         // 000000010994: D86C9080 84000015
	ds_read_b32 v133, v21 offset:37056                         // 00000001099C: D86C90C0 85000015
	ds_read_b32 v136, v21 offset:39168                         // 0000000109A4: D86C9900 88000015
	ds_read_b32 v137, v21 offset:39232                         // 0000000109AC: D86C9940 89000015
	ds_read_b32 v140, v21 offset:41344                         // 0000000109B4: D86CA180 8C000015
	ds_read_b32 v141, v21 offset:41408                         // 0000000109BC: D86CA1C0 8D000015
	s_waitcnt lgkmcnt(0)                                       // 0000000109C4: BF8CC07F
	s_mov_b32 s36, -1                                          // 0000000109C8: BEA400C1
	s_mov_b32 s37, -1                                          // 0000000109CC: BEA500C1
	v_mov_b32_e32 v7, 0                                        // 0000000109D0: 7E0E0280
	s_mov_b64 exec, s[36:37]                                   // 0000000109D4: BEFE0124
	v_mov_b32_e32 v6, v50                                      // 0000000109D8: 7E0C0332
	s_mov_b64 s[60:61], 0                                      // 0000000109DC: BEBC0180
	v_readlane_b32 s82, v3, 0                                  // 0000000109E0: D2890052 00010103
	s_and_b32 s82, s82, 0xffffff                               // 0000000109E8: 8652FF52 00FFFFFF
	s_cmp_lt_u32 s82, s66                                      // 0000000109F0: BF0A4252
	s_cselect_b32 s20, s36, s60                                // 0000000109F4: 85143C24
	v_readlane_b32 s82, v3, 1                                  // 0000000109F8: D2890052 00010303
	s_and_b32 s82, s82, 0xffffff                               // 000000010A00: 8652FF52 00FFFFFF
	s_cmp_lt_u32 s82, s66                                      // 000000010A08: BF0A4252
	s_cselect_b32 s21, s36, s60                                // 000000010A0C: 85153C24
	s_mov_b64 exec, s[20:21]                                   // 000000010A10: BEFE0114
	global_atomic_add_f32 v6, v64, s[8:9]                      // 000000010A14: DD348000 00084006
	global_atomic_add_f32 v6, v68, s[8:9] offset:256           // 000000010A1C: DD348100 00084406
	global_atomic_add_f32 v6, v72, s[8:9] offset:512           // 000000010A24: DD348200 00084806
	global_atomic_add_f32 v6, v76, s[8:9] offset:768           // 000000010A2C: DD348300 00084C06
	s_mov_b64 exec, s[36:37]                                   // 000000010A34: BEFE0124
	v_mov_b32_e32 v6, v51                                      // 000000010A38: 7E0C0333
	s_mov_b64 s[60:61], 0                                      // 000000010A3C: BEBC0180
	v_readlane_b32 s82, v3, 2                                  // 000000010A40: D2890052 00010503
	s_and_b32 s82, s82, 0xffffff                               // 000000010A48: 8652FF52 00FFFFFF
	s_cmp_lt_u32 s82, s66                                      // 000000010A50: BF0A4252
	s_cselect_b32 s20, s36, s60                                // 000000010A54: 85143C24
	v_readlane_b32 s82, v3, 3                                  // 000000010A58: D2890052 00010703
	s_and_b32 s82, s82, 0xffffff                               // 000000010A60: 8652FF52 00FFFFFF
	s_cmp_lt_u32 s82, s66                                      // 000000010A68: BF0A4252
	s_cselect_b32 s21, s36, s60                                // 000000010A6C: 85153C24
	s_mov_b64 exec, s[20:21]                                   // 000000010A70: BEFE0114
	global_atomic_add_f32 v6, v65, s[8:9]                      // 000000010A74: DD348000 00084106
	global_atomic_add_f32 v6, v69, s[8:9] offset:256           // 000000010A7C: DD348100 00084506
	global_atomic_add_f32 v6, v73, s[8:9] offset:512           // 000000010A84: DD348200 00084906
	global_atomic_add_f32 v6, v77, s[8:9] offset:768           // 000000010A8C: DD348300 00084D06
	s_mov_b64 exec, s[36:37]                                   // 000000010A94: BEFE0124
	v_mov_b32_e32 v6, v52                                      // 000000010A98: 7E0C0334
	s_mov_b64 s[60:61], 0                                      // 000000010A9C: BEBC0180
	v_readlane_b32 s82, v3, 4                                  // 000000010AA0: D2890052 00010903
	s_and_b32 s82, s82, 0xffffff                               // 000000010AA8: 8652FF52 00FFFFFF
	s_cmp_lt_u32 s82, s66                                      // 000000010AB0: BF0A4252
	s_cselect_b32 s20, s36, s60                                // 000000010AB4: 85143C24
	v_readlane_b32 s82, v3, 5                                  // 000000010AB8: D2890052 00010B03
	s_and_b32 s82, s82, 0xffffff                               // 000000010AC0: 8652FF52 00FFFFFF
	s_cmp_lt_u32 s82, s66                                      // 000000010AC8: BF0A4252
	s_cselect_b32 s21, s36, s60                                // 000000010ACC: 85153C24
	s_mov_b64 exec, s[20:21]                                   // 000000010AD0: BEFE0114
	global_atomic_add_f32 v6, v80, s[8:9]                      // 000000010AD4: DD348000 00085006
	global_atomic_add_f32 v6, v84, s[8:9] offset:256           // 000000010ADC: DD348100 00085406
	global_atomic_add_f32 v6, v88, s[8:9] offset:512           // 000000010AE4: DD348200 00085806
	global_atomic_add_f32 v6, v92, s[8:9] offset:768           // 000000010AEC: DD348300 00085C06
	s_mov_b64 exec, s[36:37]                                   // 000000010AF4: BEFE0124
	v_mov_b32_e32 v6, v53                                      // 000000010AF8: 7E0C0335
	s_mov_b64 s[60:61], 0                                      // 000000010AFC: BEBC0180
	v_readlane_b32 s82, v3, 6                                  // 000000010B00: D2890052 00010D03
	s_and_b32 s82, s82, 0xffffff                               // 000000010B08: 8652FF52 00FFFFFF
	s_cmp_lt_u32 s82, s66                                      // 000000010B10: BF0A4252
	s_cselect_b32 s20, s36, s60                                // 000000010B14: 85143C24
	v_readlane_b32 s82, v3, 7                                  // 000000010B18: D2890052 00010F03
	s_and_b32 s82, s82, 0xffffff                               // 000000010B20: 8652FF52 00FFFFFF
	s_cmp_lt_u32 s82, s66                                      // 000000010B28: BF0A4252
	s_cselect_b32 s21, s36, s60                                // 000000010B2C: 85153C24
	s_mov_b64 exec, s[20:21]                                   // 000000010B30: BEFE0114
	global_atomic_add_f32 v6, v81, s[8:9]                      // 000000010B34: DD348000 00085106
	global_atomic_add_f32 v6, v85, s[8:9] offset:256           // 000000010B3C: DD348100 00085506
	global_atomic_add_f32 v6, v89, s[8:9] offset:512           // 000000010B44: DD348200 00085906
	global_atomic_add_f32 v6, v93, s[8:9] offset:768           // 000000010B4C: DD348300 00085D06
	s_mov_b64 exec, s[36:37]                                   // 000000010B54: BEFE0124
	v_mov_b32_e32 v6, v54                                      // 000000010B58: 7E0C0336
	s_mov_b64 s[60:61], 0                                      // 000000010B5C: BEBC0180
	v_readlane_b32 s82, v3, 8                                  // 000000010B60: D2890052 00011103
	s_and_b32 s82, s82, 0xffffff                               // 000000010B68: 8652FF52 00FFFFFF
	s_cmp_lt_u32 s82, s66                                      // 000000010B70: BF0A4252
	s_cselect_b32 s20, s36, s60                                // 000000010B74: 85143C24
	v_readlane_b32 s82, v3, 9                                  // 000000010B78: D2890052 00011303
	s_and_b32 s82, s82, 0xffffff                               // 000000010B80: 8652FF52 00FFFFFF
	s_cmp_lt_u32 s82, s66                                      // 000000010B88: BF0A4252
	s_cselect_b32 s21, s36, s60                                // 000000010B8C: 85153C24
	s_mov_b64 exec, s[20:21]                                   // 000000010B90: BEFE0114
	global_atomic_add_f32 v6, v96, s[8:9]                      // 000000010B94: DD348000 00086006
	global_atomic_add_f32 v6, v100, s[8:9] offset:256          // 000000010B9C: DD348100 00086406
	global_atomic_add_f32 v6, v104, s[8:9] offset:512          // 000000010BA4: DD348200 00086806
	global_atomic_add_f32 v6, v108, s[8:9] offset:768          // 000000010BAC: DD348300 00086C06
	s_mov_b64 exec, s[36:37]                                   // 000000010BB4: BEFE0124
	v_mov_b32_e32 v6, v55                                      // 000000010BB8: 7E0C0337
	s_mov_b64 s[60:61], 0                                      // 000000010BBC: BEBC0180
	v_readlane_b32 s82, v3, 10                                 // 000000010BC0: D2890052 00011503
	s_and_b32 s82, s82, 0xffffff                               // 000000010BC8: 8652FF52 00FFFFFF
	s_cmp_lt_u32 s82, s66                                      // 000000010BD0: BF0A4252
	s_cselect_b32 s20, s36, s60                                // 000000010BD4: 85143C24
	v_readlane_b32 s82, v3, 11                                 // 000000010BD8: D2890052 00011703
	s_and_b32 s82, s82, 0xffffff                               // 000000010BE0: 8652FF52 00FFFFFF
	s_cmp_lt_u32 s82, s66                                      // 000000010BE8: BF0A4252
	s_cselect_b32 s21, s36, s60                                // 000000010BEC: 85153C24
	s_mov_b64 exec, s[20:21]                                   // 000000010BF0: BEFE0114
	global_atomic_add_f32 v6, v97, s[8:9]                      // 000000010BF4: DD348000 00086106
	global_atomic_add_f32 v6, v101, s[8:9] offset:256          // 000000010BFC: DD348100 00086506
	global_atomic_add_f32 v6, v105, s[8:9] offset:512          // 000000010C04: DD348200 00086906
	global_atomic_add_f32 v6, v109, s[8:9] offset:768          // 000000010C0C: DD348300 00086D06
	s_mov_b64 exec, s[36:37]                                   // 000000010C14: BEFE0124
	v_mov_b32_e32 v6, v56                                      // 000000010C18: 7E0C0338
	s_mov_b64 s[60:61], 0                                      // 000000010C1C: BEBC0180
	v_readlane_b32 s82, v3, 12                                 // 000000010C20: D2890052 00011903
	s_and_b32 s82, s82, 0xffffff                               // 000000010C28: 8652FF52 00FFFFFF
	s_cmp_lt_u32 s82, s66                                      // 000000010C30: BF0A4252
	s_cselect_b32 s20, s36, s60                                // 000000010C34: 85143C24
	v_readlane_b32 s82, v3, 13                                 // 000000010C38: D2890052 00011B03
	s_and_b32 s82, s82, 0xffffff                               // 000000010C40: 8652FF52 00FFFFFF
	s_cmp_lt_u32 s82, s66                                      // 000000010C48: BF0A4252
	s_cselect_b32 s21, s36, s60                                // 000000010C4C: 85153C24
	s_mov_b64 exec, s[20:21]                                   // 000000010C50: BEFE0114
	global_atomic_add_f32 v6, v112, s[8:9]                     // 000000010C54: DD348000 00087006
	global_atomic_add_f32 v6, v116, s[8:9] offset:256          // 000000010C5C: DD348100 00087406
	global_atomic_add_f32 v6, v120, s[8:9] offset:512          // 000000010C64: DD348200 00087806
	global_atomic_add_f32 v6, v124, s[8:9] offset:768          // 000000010C6C: DD348300 00087C06
	s_mov_b64 exec, s[36:37]                                   // 000000010C74: BEFE0124
	v_mov_b32_e32 v6, v57                                      // 000000010C78: 7E0C0339
	s_mov_b64 s[60:61], 0                                      // 000000010C7C: BEBC0180
	v_readlane_b32 s82, v3, 14                                 // 000000010C80: D2890052 00011D03
	s_and_b32 s82, s82, 0xffffff                               // 000000010C88: 8652FF52 00FFFFFF
	s_cmp_lt_u32 s82, s66                                      // 000000010C90: BF0A4252
	s_cselect_b32 s20, s36, s60                                // 000000010C94: 85143C24
	v_readlane_b32 s82, v3, 15                                 // 000000010C98: D2890052 00011F03
	s_and_b32 s82, s82, 0xffffff                               // 000000010CA0: 8652FF52 00FFFFFF
	s_cmp_lt_u32 s82, s66                                      // 000000010CA8: BF0A4252
	s_cselect_b32 s21, s36, s60                                // 000000010CAC: 85153C24
	s_mov_b64 exec, s[20:21]                                   // 000000010CB0: BEFE0114
	global_atomic_add_f32 v6, v113, s[8:9]                     // 000000010CB4: DD348000 00087106
	global_atomic_add_f32 v6, v117, s[8:9] offset:256          // 000000010CBC: DD348100 00087506
	global_atomic_add_f32 v6, v121, s[8:9] offset:512          // 000000010CC4: DD348200 00087906
	global_atomic_add_f32 v6, v125, s[8:9] offset:768          // 000000010CCC: DD348300 00087D06
	s_mov_b64 exec, s[36:37]                                   // 000000010CD4: BEFE0124
	v_mov_b32_e32 v6, v58                                      // 000000010CD8: 7E0C033A
	s_mov_b64 s[60:61], 0                                      // 000000010CDC: BEBC0180
	v_readlane_b32 s82, v3, 16                                 // 000000010CE0: D2890052 00012103
	s_and_b32 s82, s82, 0xffffff                               // 000000010CE8: 8652FF52 00FFFFFF
	s_cmp_lt_u32 s82, s66                                      // 000000010CF0: BF0A4252
	s_cselect_b32 s20, s36, s60                                // 000000010CF4: 85143C24
	v_readlane_b32 s82, v3, 17                                 // 000000010CF8: D2890052 00012303
	s_and_b32 s82, s82, 0xffffff                               // 000000010D00: 8652FF52 00FFFFFF
	s_cmp_lt_u32 s82, s66                                      // 000000010D08: BF0A4252
	s_cselect_b32 s21, s36, s60                                // 000000010D0C: 85153C24
	s_mov_b64 exec, s[20:21]                                   // 000000010D10: BEFE0114
	global_atomic_add_f32 v6, v128, s[8:9]                     // 000000010D14: DD348000 00088006
	global_atomic_add_f32 v6, v132, s[8:9] offset:256          // 000000010D1C: DD348100 00088406
	global_atomic_add_f32 v6, v136, s[8:9] offset:512          // 000000010D24: DD348200 00088806
	global_atomic_add_f32 v6, v140, s[8:9] offset:768          // 000000010D2C: DD348300 00088C06
	s_mov_b64 exec, s[36:37]                                   // 000000010D34: BEFE0124
	v_mov_b32_e32 v6, v59                                      // 000000010D38: 7E0C033B
	s_mov_b64 s[60:61], 0                                      // 000000010D3C: BEBC0180
	v_readlane_b32 s82, v3, 18                                 // 000000010D40: D2890052 00012503
	s_and_b32 s82, s82, 0xffffff                               // 000000010D48: 8652FF52 00FFFFFF
	s_cmp_lt_u32 s82, s66                                      // 000000010D50: BF0A4252
	s_cselect_b32 s20, s36, s60                                // 000000010D54: 85143C24
	v_readlane_b32 s82, v3, 19                                 // 000000010D58: D2890052 00012703
	s_and_b32 s82, s82, 0xffffff                               // 000000010D60: 8652FF52 00FFFFFF
	s_cmp_lt_u32 s82, s66                                      // 000000010D68: BF0A4252
	s_cselect_b32 s21, s36, s60                                // 000000010D6C: 85153C24
	s_mov_b64 exec, s[20:21]                                   // 000000010D70: BEFE0114
	global_atomic_add_f32 v6, v129, s[8:9]                     // 000000010D74: DD348000 00088106
	global_atomic_add_f32 v6, v133, s[8:9] offset:256          // 000000010D7C: DD348100 00088506
	global_atomic_add_f32 v6, v137, s[8:9] offset:512          // 000000010D84: DD348200 00088906
	global_atomic_add_f32 v6, v141, s[8:9] offset:768          // 000000010D8C: DD348300 00088D06
	s_mov_b64 exec, s[36:37]                                   // 000000010D94: BEFE0124
	ds_write_b64 v20, v[66:67]                                 // 000000010D98: D89A0000 00004214
	ds_write_b64 v20, v[70:71] offset:8704                     // 000000010DA0: D89A2200 00004614
	ds_write_b64 v20, v[74:75] offset:17408                    // 000000010DA8: D89A4400 00004A14
	ds_write_b64 v20, v[78:79] offset:26112                    // 000000010DB0: D89A6600 00004E14
	ds_write_b64 v20, v[82:83] offset:34816                    // 000000010DB8: D89A8800 00005214
	ds_write_b64 v20, v[86:87] offset:2176                     // 000000010DC0: D89A0880 00005614
	ds_write_b64 v20, v[90:91] offset:10880                    // 000000010DC8: D89A2A80 00005A14
	ds_write_b64 v20, v[94:95] offset:19584                    // 000000010DD0: D89A4C80 00005E14
	ds_write_b64 v20, v[98:99] offset:28288                    // 000000010DD8: D89A6E80 00006214
	ds_write_b64 v20, v[102:103] offset:36992                  // 000000010DE0: D89A9080 00006614
	ds_write_b64 v20, v[106:107] offset:4352                   // 000000010DE8: D89A1100 00006A14
	ds_write_b64 v20, v[110:111] offset:13056                  // 000000010DF0: D89A3300 00006E14
	ds_write_b64 v20, v[114:115] offset:21760                  // 000000010DF8: D89A5500 00007214
	ds_write_b64 v20, v[118:119] offset:30464                  // 000000010E00: D89A7700 00007614
	ds_write_b64 v20, v[122:123] offset:39168                  // 000000010E08: D89A9900 00007A14
	ds_write_b64 v20, v[126:127] offset:6528                   // 000000010E10: D89A1980 00007E14
	ds_write_b64 v20, v[130:131] offset:15232                  // 000000010E18: D89A3B80 00008214
	ds_write_b64 v20, v[134:135] offset:23936                  // 000000010E20: D89A5D80 00008614
	ds_write_b64 v20, v[138:139] offset:32640                  // 000000010E28: D89A7F80 00008A14
	ds_write_b64 v20, v[142:143] offset:41344                  // 000000010E30: D89AA180 00008E14
	s_waitcnt lgkmcnt(0)                                       // 000000010E38: BF8CC07F
	s_barrier                                                  // 000000010E3C: BF8A0000
	ds_read_b32 v66, v21                                       // 000000010E40: D86C0000 42000015
	ds_read_b32 v67, v21 offset:64                             // 000000010E48: D86C0040 43000015
	ds_read_b32 v70, v21 offset:2176                           // 000000010E50: D86C0880 46000015
	ds_read_b32 v71, v21 offset:2240                           // 000000010E58: D86C08C0 47000015
	ds_read_b32 v74, v21 offset:4352                           // 000000010E60: D86C1100 4A000015
	ds_read_b32 v75, v21 offset:4416                           // 000000010E68: D86C1140 4B000015
	ds_read_b32 v78, v21 offset:6528                           // 000000010E70: D86C1980 4E000015
	ds_read_b32 v79, v21 offset:6592                           // 000000010E78: D86C19C0 4F000015
	ds_read_b32 v82, v21 offset:8704                           // 000000010E80: D86C2200 52000015
	ds_read_b32 v83, v21 offset:8768                           // 000000010E88: D86C2240 53000015
	ds_read_b32 v86, v21 offset:10880                          // 000000010E90: D86C2A80 56000015
	ds_read_b32 v87, v21 offset:10944                          // 000000010E98: D86C2AC0 57000015
	ds_read_b32 v90, v21 offset:13056                          // 000000010EA0: D86C3300 5A000015
	ds_read_b32 v91, v21 offset:13120                          // 000000010EA8: D86C3340 5B000015
	ds_read_b32 v94, v21 offset:15232                          // 000000010EB0: D86C3B80 5E000015
	ds_read_b32 v95, v21 offset:15296                          // 000000010EB8: D86C3BC0 5F000015
	ds_read_b32 v98, v21 offset:17408                          // 000000010EC0: D86C4400 62000015
	ds_read_b32 v99, v21 offset:17472                          // 000000010EC8: D86C4440 63000015
	ds_read_b32 v102, v21 offset:19584                         // 000000010ED0: D86C4C80 66000015
	ds_read_b32 v103, v21 offset:19648                         // 000000010ED8: D86C4CC0 67000015
	ds_read_b32 v106, v21 offset:21760                         // 000000010EE0: D86C5500 6A000015
	ds_read_b32 v107, v21 offset:21824                         // 000000010EE8: D86C5540 6B000015
	ds_read_b32 v110, v21 offset:23936                         // 000000010EF0: D86C5D80 6E000015
	ds_read_b32 v111, v21 offset:24000                         // 000000010EF8: D86C5DC0 6F000015
	ds_read_b32 v114, v21 offset:26112                         // 000000010F00: D86C6600 72000015
	ds_read_b32 v115, v21 offset:26176                         // 000000010F08: D86C6640 73000015
	ds_read_b32 v118, v21 offset:28288                         // 000000010F10: D86C6E80 76000015
	ds_read_b32 v119, v21 offset:28352                         // 000000010F18: D86C6EC0 77000015
	ds_read_b32 v122, v21 offset:30464                         // 000000010F20: D86C7700 7A000015
	ds_read_b32 v123, v21 offset:30528                         // 000000010F28: D86C7740 7B000015
	ds_read_b32 v126, v21 offset:32640                         // 000000010F30: D86C7F80 7E000015
	ds_read_b32 v127, v21 offset:32704                         // 000000010F38: D86C7FC0 7F000015
	ds_read_b32 v130, v21 offset:34816                         // 000000010F40: D86C8800 82000015
	ds_read_b32 v131, v21 offset:34880                         // 000000010F48: D86C8840 83000015
	ds_read_b32 v134, v21 offset:36992                         // 000000010F50: D86C9080 86000015
	ds_read_b32 v135, v21 offset:37056                         // 000000010F58: D86C90C0 87000015
	ds_read_b32 v138, v21 offset:39168                         // 000000010F60: D86C9900 8A000015
	ds_read_b32 v139, v21 offset:39232                         // 000000010F68: D86C9940 8B000015
	ds_read_b32 v142, v21 offset:41344                         // 000000010F70: D86CA180 8E000015
	ds_read_b32 v143, v21 offset:41408                         // 000000010F78: D86CA1C0 8F000015
	s_waitcnt lgkmcnt(0)                                       // 000000010F80: BF8CC07F
	v_mov_b32_e32 v7, 0                                        // 000000010F84: 7E0E0280
	s_mov_b64 exec, s[36:37]                                   // 000000010F88: BEFE0124
	v_mov_b32_e32 v6, v50                                      // 000000010F8C: 7E0C0332
	s_mov_b64 s[60:61], 0                                      // 000000010F90: BEBC0180
	v_readlane_b32 s82, v3, 0                                  // 000000010F94: D2890052 00010103
	s_and_b32 s82, s82, 0xffffff                               // 000000010F9C: 8652FF52 00FFFFFF
	s_cmp_lt_u32 s82, s66                                      // 000000010FA4: BF0A4252
	s_cselect_b32 s20, s36, s60                                // 000000010FA8: 85143C24
	v_readlane_b32 s82, v3, 1                                  // 000000010FAC: D2890052 00010303
	s_and_b32 s82, s82, 0xffffff                               // 000000010FB4: 8652FF52 00FFFFFF
	s_cmp_lt_u32 s82, s66                                      // 000000010FBC: BF0A4252
	s_cselect_b32 s21, s36, s60                                // 000000010FC0: 85153C24
	s_mov_b64 exec, s[20:21]                                   // 000000010FC4: BEFE0114
	global_atomic_add_f32 v6, v66, s[8:9] offset:8             // 000000010FC8: DD348008 00084206
	global_atomic_add_f32 v6, v70, s[8:9] offset:264           // 000000010FD0: DD348108 00084606
	global_atomic_add_f32 v6, v74, s[8:9] offset:520           // 000000010FD8: DD348208 00084A06
	global_atomic_add_f32 v6, v78, s[8:9] offset:776           // 000000010FE0: DD348308 00084E06
	s_mov_b64 exec, s[36:37]                                   // 000000010FE8: BEFE0124
	v_mov_b32_e32 v6, v51                                      // 000000010FEC: 7E0C0333
	s_mov_b64 s[60:61], 0                                      // 000000010FF0: BEBC0180
	v_readlane_b32 s82, v3, 2                                  // 000000010FF4: D2890052 00010503
	s_and_b32 s82, s82, 0xffffff                               // 000000010FFC: 8652FF52 00FFFFFF
	s_cmp_lt_u32 s82, s66                                      // 000000011004: BF0A4252
	s_cselect_b32 s20, s36, s60                                // 000000011008: 85143C24
	v_readlane_b32 s82, v3, 3                                  // 00000001100C: D2890052 00010703
	s_and_b32 s82, s82, 0xffffff                               // 000000011014: 8652FF52 00FFFFFF
	s_cmp_lt_u32 s82, s66                                      // 00000001101C: BF0A4252
	s_cselect_b32 s21, s36, s60                                // 000000011020: 85153C24
	s_mov_b64 exec, s[20:21]                                   // 000000011024: BEFE0114
	global_atomic_add_f32 v6, v67, s[8:9] offset:8             // 000000011028: DD348008 00084306
	global_atomic_add_f32 v6, v71, s[8:9] offset:264           // 000000011030: DD348108 00084706
	global_atomic_add_f32 v6, v75, s[8:9] offset:520           // 000000011038: DD348208 00084B06
	global_atomic_add_f32 v6, v79, s[8:9] offset:776           // 000000011040: DD348308 00084F06
	s_mov_b64 exec, s[36:37]                                   // 000000011048: BEFE0124
	v_mov_b32_e32 v6, v52                                      // 00000001104C: 7E0C0334
	s_mov_b64 s[60:61], 0                                      // 000000011050: BEBC0180
	v_readlane_b32 s82, v3, 4                                  // 000000011054: D2890052 00010903
	s_and_b32 s82, s82, 0xffffff                               // 00000001105C: 8652FF52 00FFFFFF
	s_cmp_lt_u32 s82, s66                                      // 000000011064: BF0A4252
	s_cselect_b32 s20, s36, s60                                // 000000011068: 85143C24
	v_readlane_b32 s82, v3, 5                                  // 00000001106C: D2890052 00010B03
	s_and_b32 s82, s82, 0xffffff                               // 000000011074: 8652FF52 00FFFFFF
	s_cmp_lt_u32 s82, s66                                      // 00000001107C: BF0A4252
	s_cselect_b32 s21, s36, s60                                // 000000011080: 85153C24
	s_mov_b64 exec, s[20:21]                                   // 000000011084: BEFE0114
	global_atomic_add_f32 v6, v82, s[8:9] offset:8             // 000000011088: DD348008 00085206
	global_atomic_add_f32 v6, v86, s[8:9] offset:264           // 000000011090: DD348108 00085606
	global_atomic_add_f32 v6, v90, s[8:9] offset:520           // 000000011098: DD348208 00085A06
	global_atomic_add_f32 v6, v94, s[8:9] offset:776           // 0000000110A0: DD348308 00085E06
	s_mov_b64 exec, s[36:37]                                   // 0000000110A8: BEFE0124
	v_mov_b32_e32 v6, v53                                      // 0000000110AC: 7E0C0335
	s_mov_b64 s[60:61], 0                                      // 0000000110B0: BEBC0180
	v_readlane_b32 s82, v3, 6                                  // 0000000110B4: D2890052 00010D03
	s_and_b32 s82, s82, 0xffffff                               // 0000000110BC: 8652FF52 00FFFFFF
	s_cmp_lt_u32 s82, s66                                      // 0000000110C4: BF0A4252
	s_cselect_b32 s20, s36, s60                                // 0000000110C8: 85143C24
	v_readlane_b32 s82, v3, 7                                  // 0000000110CC: D2890052 00010F03
	s_and_b32 s82, s82, 0xffffff                               // 0000000110D4: 8652FF52 00FFFFFF
	s_cmp_lt_u32 s82, s66                                      // 0000000110DC: BF0A4252
	s_cselect_b32 s21, s36, s60                                // 0000000110E0: 85153C24
	s_mov_b64 exec, s[20:21]                                   // 0000000110E4: BEFE0114
	global_atomic_add_f32 v6, v83, s[8:9] offset:8             // 0000000110E8: DD348008 00085306
	global_atomic_add_f32 v6, v87, s[8:9] offset:264           // 0000000110F0: DD348108 00085706
	global_atomic_add_f32 v6, v91, s[8:9] offset:520           // 0000000110F8: DD348208 00085B06
	global_atomic_add_f32 v6, v95, s[8:9] offset:776           // 000000011100: DD348308 00085F06
	s_mov_b64 exec, s[36:37]                                   // 000000011108: BEFE0124
	v_mov_b32_e32 v6, v54                                      // 00000001110C: 7E0C0336
	s_mov_b64 s[60:61], 0                                      // 000000011110: BEBC0180
	v_readlane_b32 s82, v3, 8                                  // 000000011114: D2890052 00011103
	s_and_b32 s82, s82, 0xffffff                               // 00000001111C: 8652FF52 00FFFFFF
	s_cmp_lt_u32 s82, s66                                      // 000000011124: BF0A4252
	s_cselect_b32 s20, s36, s60                                // 000000011128: 85143C24
	v_readlane_b32 s82, v3, 9                                  // 00000001112C: D2890052 00011303
	s_and_b32 s82, s82, 0xffffff                               // 000000011134: 8652FF52 00FFFFFF
	s_cmp_lt_u32 s82, s66                                      // 00000001113C: BF0A4252
	s_cselect_b32 s21, s36, s60                                // 000000011140: 85153C24
	s_mov_b64 exec, s[20:21]                                   // 000000011144: BEFE0114
	global_atomic_add_f32 v6, v98, s[8:9] offset:8             // 000000011148: DD348008 00086206
	global_atomic_add_f32 v6, v102, s[8:9] offset:264          // 000000011150: DD348108 00086606
	global_atomic_add_f32 v6, v106, s[8:9] offset:520          // 000000011158: DD348208 00086A06
	global_atomic_add_f32 v6, v110, s[8:9] offset:776          // 000000011160: DD348308 00086E06
	s_mov_b64 exec, s[36:37]                                   // 000000011168: BEFE0124
	v_mov_b32_e32 v6, v55                                      // 00000001116C: 7E0C0337
	s_mov_b64 s[60:61], 0                                      // 000000011170: BEBC0180
	v_readlane_b32 s82, v3, 10                                 // 000000011174: D2890052 00011503
	s_and_b32 s82, s82, 0xffffff                               // 00000001117C: 8652FF52 00FFFFFF
	s_cmp_lt_u32 s82, s66                                      // 000000011184: BF0A4252
	s_cselect_b32 s20, s36, s60                                // 000000011188: 85143C24
	v_readlane_b32 s82, v3, 11                                 // 00000001118C: D2890052 00011703
	s_and_b32 s82, s82, 0xffffff                               // 000000011194: 8652FF52 00FFFFFF
	s_cmp_lt_u32 s82, s66                                      // 00000001119C: BF0A4252
	s_cselect_b32 s21, s36, s60                                // 0000000111A0: 85153C24
	s_mov_b64 exec, s[20:21]                                   // 0000000111A4: BEFE0114
	global_atomic_add_f32 v6, v99, s[8:9] offset:8             // 0000000111A8: DD348008 00086306
	global_atomic_add_f32 v6, v103, s[8:9] offset:264          // 0000000111B0: DD348108 00086706
	global_atomic_add_f32 v6, v107, s[8:9] offset:520          // 0000000111B8: DD348208 00086B06
	global_atomic_add_f32 v6, v111, s[8:9] offset:776          // 0000000111C0: DD348308 00086F06
	s_mov_b64 exec, s[36:37]                                   // 0000000111C8: BEFE0124
	v_mov_b32_e32 v6, v56                                      // 0000000111CC: 7E0C0338
	s_mov_b64 s[60:61], 0                                      // 0000000111D0: BEBC0180
	v_readlane_b32 s82, v3, 12                                 // 0000000111D4: D2890052 00011903
	s_and_b32 s82, s82, 0xffffff                               // 0000000111DC: 8652FF52 00FFFFFF
	s_cmp_lt_u32 s82, s66                                      // 0000000111E4: BF0A4252
	s_cselect_b32 s20, s36, s60                                // 0000000111E8: 85143C24
	v_readlane_b32 s82, v3, 13                                 // 0000000111EC: D2890052 00011B03
	s_and_b32 s82, s82, 0xffffff                               // 0000000111F4: 8652FF52 00FFFFFF
	s_cmp_lt_u32 s82, s66                                      // 0000000111FC: BF0A4252
	s_cselect_b32 s21, s36, s60                                // 000000011200: 85153C24
	s_mov_b64 exec, s[20:21]                                   // 000000011204: BEFE0114
	global_atomic_add_f32 v6, v114, s[8:9] offset:8            // 000000011208: DD348008 00087206
	global_atomic_add_f32 v6, v118, s[8:9] offset:264          // 000000011210: DD348108 00087606
	global_atomic_add_f32 v6, v122, s[8:9] offset:520          // 000000011218: DD348208 00087A06
	global_atomic_add_f32 v6, v126, s[8:9] offset:776          // 000000011220: DD348308 00087E06
	s_mov_b64 exec, s[36:37]                                   // 000000011228: BEFE0124
	v_mov_b32_e32 v6, v57                                      // 00000001122C: 7E0C0339
	s_mov_b64 s[60:61], 0                                      // 000000011230: BEBC0180
	v_readlane_b32 s82, v3, 14                                 // 000000011234: D2890052 00011D03
	s_and_b32 s82, s82, 0xffffff                               // 00000001123C: 8652FF52 00FFFFFF
	s_cmp_lt_u32 s82, s66                                      // 000000011244: BF0A4252
	s_cselect_b32 s20, s36, s60                                // 000000011248: 85143C24
	v_readlane_b32 s82, v3, 15                                 // 00000001124C: D2890052 00011F03
	s_and_b32 s82, s82, 0xffffff                               // 000000011254: 8652FF52 00FFFFFF
	s_cmp_lt_u32 s82, s66                                      // 00000001125C: BF0A4252
	s_cselect_b32 s21, s36, s60                                // 000000011260: 85153C24
	s_mov_b64 exec, s[20:21]                                   // 000000011264: BEFE0114
	global_atomic_add_f32 v6, v115, s[8:9] offset:8            // 000000011268: DD348008 00087306
	global_atomic_add_f32 v6, v119, s[8:9] offset:264          // 000000011270: DD348108 00087706
	global_atomic_add_f32 v6, v123, s[8:9] offset:520          // 000000011278: DD348208 00087B06
	global_atomic_add_f32 v6, v127, s[8:9] offset:776          // 000000011280: DD348308 00087F06
	s_mov_b64 exec, s[36:37]                                   // 000000011288: BEFE0124
	v_mov_b32_e32 v6, v58                                      // 00000001128C: 7E0C033A
	s_mov_b64 s[60:61], 0                                      // 000000011290: BEBC0180
	v_readlane_b32 s82, v3, 16                                 // 000000011294: D2890052 00012103
	s_and_b32 s82, s82, 0xffffff                               // 00000001129C: 8652FF52 00FFFFFF
	s_cmp_lt_u32 s82, s66                                      // 0000000112A4: BF0A4252
	s_cselect_b32 s20, s36, s60                                // 0000000112A8: 85143C24
	v_readlane_b32 s82, v3, 17                                 // 0000000112AC: D2890052 00012303
	s_and_b32 s82, s82, 0xffffff                               // 0000000112B4: 8652FF52 00FFFFFF
	s_cmp_lt_u32 s82, s66                                      // 0000000112BC: BF0A4252
	s_cselect_b32 s21, s36, s60                                // 0000000112C0: 85153C24
	s_mov_b64 exec, s[20:21]                                   // 0000000112C4: BEFE0114
	global_atomic_add_f32 v6, v130, s[8:9] offset:8            // 0000000112C8: DD348008 00088206
	global_atomic_add_f32 v6, v134, s[8:9] offset:264          // 0000000112D0: DD348108 00088606
	global_atomic_add_f32 v6, v138, s[8:9] offset:520          // 0000000112D8: DD348208 00088A06
	global_atomic_add_f32 v6, v142, s[8:9] offset:776          // 0000000112E0: DD348308 00088E06
	s_mov_b64 exec, s[36:37]                                   // 0000000112E8: BEFE0124
	v_mov_b32_e32 v6, v59                                      // 0000000112EC: 7E0C033B
	s_mov_b64 s[60:61], 0                                      // 0000000112F0: BEBC0180
	v_readlane_b32 s82, v3, 18                                 // 0000000112F4: D2890052 00012503
	s_and_b32 s82, s82, 0xffffff                               // 0000000112FC: 8652FF52 00FFFFFF
	s_cmp_lt_u32 s82, s66                                      // 000000011304: BF0A4252
	s_cselect_b32 s20, s36, s60                                // 000000011308: 85143C24
	v_readlane_b32 s82, v3, 19                                 // 00000001130C: D2890052 00012703
	s_and_b32 s82, s82, 0xffffff                               // 000000011314: 8652FF52 00FFFFFF
	s_cmp_lt_u32 s82, s66                                      // 00000001131C: BF0A4252
	s_cselect_b32 s21, s36, s60                                // 000000011320: 85153C24
	s_mov_b64 exec, s[20:21]                                   // 000000011324: BEFE0114
	global_atomic_add_f32 v6, v131, s[8:9] offset:8            // 000000011328: DD348008 00088306
	global_atomic_add_f32 v6, v135, s[8:9] offset:264          // 000000011330: DD348108 00088706
	global_atomic_add_f32 v6, v139, s[8:9] offset:520          // 000000011338: DD348208 00088B06
	global_atomic_add_f32 v6, v143, s[8:9] offset:776          // 000000011340: DD348308 00088F06
	s_mov_b64 exec, s[36:37]                                   // 000000011348: BEFE0124
	ds_write_b64 v20, v[144:145]                               // 00000001134C: D89A0000 00009014
	ds_write_b64 v20, v[148:149] offset:8704                   // 000000011354: D89A2200 00009414
	ds_write_b64 v20, v[152:153] offset:17408                  // 00000001135C: D89A4400 00009814
	ds_write_b64 v20, v[156:157] offset:26112                  // 000000011364: D89A6600 00009C14
	ds_write_b64 v20, v[160:161] offset:34816                  // 00000001136C: D89A8800 0000A014
	ds_write_b64 v20, v[164:165] offset:2176                   // 000000011374: D89A0880 0000A414
	ds_write_b64 v20, v[168:169] offset:10880                  // 00000001137C: D89A2A80 0000A814
	ds_write_b64 v20, v[172:173] offset:19584                  // 000000011384: D89A4C80 0000AC14
	ds_write_b64 v20, v[176:177] offset:28288                  // 00000001138C: D89A6E80 0000B014
	ds_write_b64 v20, v[180:181] offset:36992                  // 000000011394: D89A9080 0000B414
	ds_write_b64 v20, v[184:185] offset:4352                   // 00000001139C: D89A1100 0000B814
	ds_write_b64 v20, v[188:189] offset:13056                  // 0000000113A4: D89A3300 0000BC14
	ds_write_b64 v20, v[192:193] offset:21760                  // 0000000113AC: D89A5500 0000C014
	ds_write_b64 v20, v[196:197] offset:30464                  // 0000000113B4: D89A7700 0000C414
	ds_write_b64 v20, v[200:201] offset:39168                  // 0000000113BC: D89A9900 0000C814
	ds_write_b64 v20, v[204:205] offset:6528                   // 0000000113C4: D89A1980 0000CC14
	ds_write_b64 v20, v[208:209] offset:15232                  // 0000000113CC: D89A3B80 0000D014
	ds_write_b64 v20, v[212:213] offset:23936                  // 0000000113D4: D89A5D80 0000D414
	ds_write_b64 v20, v[216:217] offset:32640                  // 0000000113DC: D89A7F80 0000D814
	ds_write_b64 v20, v[220:221] offset:41344                  // 0000000113E4: D89AA180 0000DC14
	s_waitcnt lgkmcnt(0)                                       // 0000000113EC: BF8CC07F
	s_barrier                                                  // 0000000113F0: BF8A0000
	ds_read_b32 v144, v21                                      // 0000000113F4: D86C0000 90000015
	ds_read_b32 v145, v21 offset:64                            // 0000000113FC: D86C0040 91000015
	ds_read_b32 v148, v21 offset:2176                          // 000000011404: D86C0880 94000015
	ds_read_b32 v149, v21 offset:2240                          // 00000001140C: D86C08C0 95000015
	ds_read_b32 v152, v21 offset:4352                          // 000000011414: D86C1100 98000015
	ds_read_b32 v153, v21 offset:4416                          // 00000001141C: D86C1140 99000015
	ds_read_b32 v156, v21 offset:6528                          // 000000011424: D86C1980 9C000015
	ds_read_b32 v157, v21 offset:6592                          // 00000001142C: D86C19C0 9D000015
	ds_read_b32 v160, v21 offset:8704                          // 000000011434: D86C2200 A0000015
	ds_read_b32 v161, v21 offset:8768                          // 00000001143C: D86C2240 A1000015
	ds_read_b32 v164, v21 offset:10880                         // 000000011444: D86C2A80 A4000015
	ds_read_b32 v165, v21 offset:10944                         // 00000001144C: D86C2AC0 A5000015
	ds_read_b32 v168, v21 offset:13056                         // 000000011454: D86C3300 A8000015
	ds_read_b32 v169, v21 offset:13120                         // 00000001145C: D86C3340 A9000015
	ds_read_b32 v172, v21 offset:15232                         // 000000011464: D86C3B80 AC000015
	ds_read_b32 v173, v21 offset:15296                         // 00000001146C: D86C3BC0 AD000015
	ds_read_b32 v176, v21 offset:17408                         // 000000011474: D86C4400 B0000015
	ds_read_b32 v177, v21 offset:17472                         // 00000001147C: D86C4440 B1000015
	ds_read_b32 v180, v21 offset:19584                         // 000000011484: D86C4C80 B4000015
	ds_read_b32 v181, v21 offset:19648                         // 00000001148C: D86C4CC0 B5000015
	ds_read_b32 v184, v21 offset:21760                         // 000000011494: D86C5500 B8000015
	ds_read_b32 v185, v21 offset:21824                         // 00000001149C: D86C5540 B9000015
	ds_read_b32 v188, v21 offset:23936                         // 0000000114A4: D86C5D80 BC000015
	ds_read_b32 v189, v21 offset:24000                         // 0000000114AC: D86C5DC0 BD000015
	ds_read_b32 v192, v21 offset:26112                         // 0000000114B4: D86C6600 C0000015
	ds_read_b32 v193, v21 offset:26176                         // 0000000114BC: D86C6640 C1000015
	ds_read_b32 v196, v21 offset:28288                         // 0000000114C4: D86C6E80 C4000015
	ds_read_b32 v197, v21 offset:28352                         // 0000000114CC: D86C6EC0 C5000015
	ds_read_b32 v200, v21 offset:30464                         // 0000000114D4: D86C7700 C8000015
	ds_read_b32 v201, v21 offset:30528                         // 0000000114DC: D86C7740 C9000015
	ds_read_b32 v204, v21 offset:32640                         // 0000000114E4: D86C7F80 CC000015
	ds_read_b32 v205, v21 offset:32704                         // 0000000114EC: D86C7FC0 CD000015
	ds_read_b32 v208, v21 offset:34816                         // 0000000114F4: D86C8800 D0000015
	ds_read_b32 v209, v21 offset:34880                         // 0000000114FC: D86C8840 D1000015
	ds_read_b32 v212, v21 offset:36992                         // 000000011504: D86C9080 D4000015
	ds_read_b32 v213, v21 offset:37056                         // 00000001150C: D86C90C0 D5000015
	ds_read_b32 v216, v21 offset:39168                         // 000000011514: D86C9900 D8000015
	ds_read_b32 v217, v21 offset:39232                         // 00000001151C: D86C9940 D9000015
	ds_read_b32 v220, v21 offset:41344                         // 000000011524: D86CA180 DC000015
	ds_read_b32 v221, v21 offset:41408                         // 00000001152C: D86CA1C0 DD000015
	s_mul_i32 s60, s65, 4                                      // 000000011534: 923C8441
	s_add_u32 s8, s60, s8                                      // 000000011538: 8008083C
	s_addc_u32 s9, 0, s9                                       // 00000001153C: 82090980
	s_waitcnt lgkmcnt(0)                                       // 000000011540: BF8CC07F
	v_mov_b32_e32 v7, 0                                        // 000000011544: 7E0E0280
	s_mov_b64 exec, s[36:37]                                   // 000000011548: BEFE0124
	v_mov_b32_e32 v6, v50                                      // 00000001154C: 7E0C0332
	s_mov_b64 s[60:61], 0                                      // 000000011550: BEBC0180
	v_readlane_b32 s82, v3, 0                                  // 000000011554: D2890052 00010103
	s_and_b32 s82, s82, 0xffffff                               // 00000001155C: 8652FF52 00FFFFFF
	s_cmp_lt_u32 s82, s66                                      // 000000011564: BF0A4252
	s_cselect_b32 s20, s36, s60                                // 000000011568: 85143C24
	v_readlane_b32 s82, v3, 1                                  // 00000001156C: D2890052 00010303
	s_and_b32 s82, s82, 0xffffff                               // 000000011574: 8652FF52 00FFFFFF
	s_cmp_lt_u32 s82, s66                                      // 00000001157C: BF0A4252
	s_cselect_b32 s21, s36, s60                                // 000000011580: 85153C24
	s_mov_b64 exec, s[20:21]                                   // 000000011584: BEFE0114
	global_atomic_add_f32 v6, v144, s[8:9]                     // 000000011588: DD348000 00089006
	global_atomic_add_f32 v6, v148, s[8:9] offset:256          // 000000011590: DD348100 00089406
	global_atomic_add_f32 v6, v152, s[8:9] offset:512          // 000000011598: DD348200 00089806
	global_atomic_add_f32 v6, v156, s[8:9] offset:768          // 0000000115A0: DD348300 00089C06
	s_mov_b64 exec, s[36:37]                                   // 0000000115A8: BEFE0124
	v_mov_b32_e32 v6, v51                                      // 0000000115AC: 7E0C0333
	s_mov_b64 s[60:61], 0                                      // 0000000115B0: BEBC0180
	v_readlane_b32 s82, v3, 2                                  // 0000000115B4: D2890052 00010503
	s_and_b32 s82, s82, 0xffffff                               // 0000000115BC: 8652FF52 00FFFFFF
	s_cmp_lt_u32 s82, s66                                      // 0000000115C4: BF0A4252
	s_cselect_b32 s20, s36, s60                                // 0000000115C8: 85143C24
	v_readlane_b32 s82, v3, 3                                  // 0000000115CC: D2890052 00010703
	s_and_b32 s82, s82, 0xffffff                               // 0000000115D4: 8652FF52 00FFFFFF
	s_cmp_lt_u32 s82, s66                                      // 0000000115DC: BF0A4252
	s_cselect_b32 s21, s36, s60                                // 0000000115E0: 85153C24
	s_mov_b64 exec, s[20:21]                                   // 0000000115E4: BEFE0114
	global_atomic_add_f32 v6, v145, s[8:9]                     // 0000000115E8: DD348000 00089106
	global_atomic_add_f32 v6, v149, s[8:9] offset:256          // 0000000115F0: DD348100 00089506
	global_atomic_add_f32 v6, v153, s[8:9] offset:512          // 0000000115F8: DD348200 00089906
	global_atomic_add_f32 v6, v157, s[8:9] offset:768          // 000000011600: DD348300 00089D06
	s_mov_b64 exec, s[36:37]                                   // 000000011608: BEFE0124
	v_mov_b32_e32 v6, v52                                      // 00000001160C: 7E0C0334
	s_mov_b64 s[60:61], 0                                      // 000000011610: BEBC0180
	v_readlane_b32 s82, v3, 4                                  // 000000011614: D2890052 00010903
	s_and_b32 s82, s82, 0xffffff                               // 00000001161C: 8652FF52 00FFFFFF
	s_cmp_lt_u32 s82, s66                                      // 000000011624: BF0A4252
	s_cselect_b32 s20, s36, s60                                // 000000011628: 85143C24
	v_readlane_b32 s82, v3, 5                                  // 00000001162C: D2890052 00010B03
	s_and_b32 s82, s82, 0xffffff                               // 000000011634: 8652FF52 00FFFFFF
	s_cmp_lt_u32 s82, s66                                      // 00000001163C: BF0A4252
	s_cselect_b32 s21, s36, s60                                // 000000011640: 85153C24
	s_mov_b64 exec, s[20:21]                                   // 000000011644: BEFE0114
	global_atomic_add_f32 v6, v160, s[8:9]                     // 000000011648: DD348000 0008A006
	global_atomic_add_f32 v6, v164, s[8:9] offset:256          // 000000011650: DD348100 0008A406
	global_atomic_add_f32 v6, v168, s[8:9] offset:512          // 000000011658: DD348200 0008A806
	global_atomic_add_f32 v6, v172, s[8:9] offset:768          // 000000011660: DD348300 0008AC06
	s_mov_b64 exec, s[36:37]                                   // 000000011668: BEFE0124
	v_mov_b32_e32 v6, v53                                      // 00000001166C: 7E0C0335
	s_mov_b64 s[60:61], 0                                      // 000000011670: BEBC0180
	v_readlane_b32 s82, v3, 6                                  // 000000011674: D2890052 00010D03
	s_and_b32 s82, s82, 0xffffff                               // 00000001167C: 8652FF52 00FFFFFF
	s_cmp_lt_u32 s82, s66                                      // 000000011684: BF0A4252
	s_cselect_b32 s20, s36, s60                                // 000000011688: 85143C24
	v_readlane_b32 s82, v3, 7                                  // 00000001168C: D2890052 00010F03
	s_and_b32 s82, s82, 0xffffff                               // 000000011694: 8652FF52 00FFFFFF
	s_cmp_lt_u32 s82, s66                                      // 00000001169C: BF0A4252
	s_cselect_b32 s21, s36, s60                                // 0000000116A0: 85153C24
	s_mov_b64 exec, s[20:21]                                   // 0000000116A4: BEFE0114
	global_atomic_add_f32 v6, v161, s[8:9]                     // 0000000116A8: DD348000 0008A106
	global_atomic_add_f32 v6, v165, s[8:9] offset:256          // 0000000116B0: DD348100 0008A506
	global_atomic_add_f32 v6, v169, s[8:9] offset:512          // 0000000116B8: DD348200 0008A906
	global_atomic_add_f32 v6, v173, s[8:9] offset:768          // 0000000116C0: DD348300 0008AD06
	s_mov_b64 exec, s[36:37]                                   // 0000000116C8: BEFE0124
	v_mov_b32_e32 v6, v54                                      // 0000000116CC: 7E0C0336
	s_mov_b64 s[60:61], 0                                      // 0000000116D0: BEBC0180
	v_readlane_b32 s82, v3, 8                                  // 0000000116D4: D2890052 00011103
	s_and_b32 s82, s82, 0xffffff                               // 0000000116DC: 8652FF52 00FFFFFF
	s_cmp_lt_u32 s82, s66                                      // 0000000116E4: BF0A4252
	s_cselect_b32 s20, s36, s60                                // 0000000116E8: 85143C24
	v_readlane_b32 s82, v3, 9                                  // 0000000116EC: D2890052 00011303
	s_and_b32 s82, s82, 0xffffff                               // 0000000116F4: 8652FF52 00FFFFFF
	s_cmp_lt_u32 s82, s66                                      // 0000000116FC: BF0A4252
	s_cselect_b32 s21, s36, s60                                // 000000011700: 85153C24
	s_mov_b64 exec, s[20:21]                                   // 000000011704: BEFE0114
	global_atomic_add_f32 v6, v176, s[8:9]                     // 000000011708: DD348000 0008B006
	global_atomic_add_f32 v6, v180, s[8:9] offset:256          // 000000011710: DD348100 0008B406
	global_atomic_add_f32 v6, v184, s[8:9] offset:512          // 000000011718: DD348200 0008B806
	global_atomic_add_f32 v6, v188, s[8:9] offset:768          // 000000011720: DD348300 0008BC06
	s_mov_b64 exec, s[36:37]                                   // 000000011728: BEFE0124
	v_mov_b32_e32 v6, v55                                      // 00000001172C: 7E0C0337
	s_mov_b64 s[60:61], 0                                      // 000000011730: BEBC0180
	v_readlane_b32 s82, v3, 10                                 // 000000011734: D2890052 00011503
	s_and_b32 s82, s82, 0xffffff                               // 00000001173C: 8652FF52 00FFFFFF
	s_cmp_lt_u32 s82, s66                                      // 000000011744: BF0A4252
	s_cselect_b32 s20, s36, s60                                // 000000011748: 85143C24
	v_readlane_b32 s82, v3, 11                                 // 00000001174C: D2890052 00011703
	s_and_b32 s82, s82, 0xffffff                               // 000000011754: 8652FF52 00FFFFFF
	s_cmp_lt_u32 s82, s66                                      // 00000001175C: BF0A4252
	s_cselect_b32 s21, s36, s60                                // 000000011760: 85153C24
	s_mov_b64 exec, s[20:21]                                   // 000000011764: BEFE0114
	global_atomic_add_f32 v6, v177, s[8:9]                     // 000000011768: DD348000 0008B106
	global_atomic_add_f32 v6, v181, s[8:9] offset:256          // 000000011770: DD348100 0008B506
	global_atomic_add_f32 v6, v185, s[8:9] offset:512          // 000000011778: DD348200 0008B906
	global_atomic_add_f32 v6, v189, s[8:9] offset:768          // 000000011780: DD348300 0008BD06
	s_mov_b64 exec, s[36:37]                                   // 000000011788: BEFE0124
	v_mov_b32_e32 v6, v56                                      // 00000001178C: 7E0C0338
	s_mov_b64 s[60:61], 0                                      // 000000011790: BEBC0180
	v_readlane_b32 s82, v3, 12                                 // 000000011794: D2890052 00011903
	s_and_b32 s82, s82, 0xffffff                               // 00000001179C: 8652FF52 00FFFFFF
	s_cmp_lt_u32 s82, s66                                      // 0000000117A4: BF0A4252
	s_cselect_b32 s20, s36, s60                                // 0000000117A8: 85143C24
	v_readlane_b32 s82, v3, 13                                 // 0000000117AC: D2890052 00011B03
	s_and_b32 s82, s82, 0xffffff                               // 0000000117B4: 8652FF52 00FFFFFF
	s_cmp_lt_u32 s82, s66                                      // 0000000117BC: BF0A4252
	s_cselect_b32 s21, s36, s60                                // 0000000117C0: 85153C24
	s_mov_b64 exec, s[20:21]                                   // 0000000117C4: BEFE0114
	global_atomic_add_f32 v6, v192, s[8:9]                     // 0000000117C8: DD348000 0008C006
	global_atomic_add_f32 v6, v196, s[8:9] offset:256          // 0000000117D0: DD348100 0008C406
	global_atomic_add_f32 v6, v200, s[8:9] offset:512          // 0000000117D8: DD348200 0008C806
	global_atomic_add_f32 v6, v204, s[8:9] offset:768          // 0000000117E0: DD348300 0008CC06
	s_mov_b64 exec, s[36:37]                                   // 0000000117E8: BEFE0124
	v_mov_b32_e32 v6, v57                                      // 0000000117EC: 7E0C0339
	s_mov_b64 s[60:61], 0                                      // 0000000117F0: BEBC0180
	v_readlane_b32 s82, v3, 14                                 // 0000000117F4: D2890052 00011D03
	s_and_b32 s82, s82, 0xffffff                               // 0000000117FC: 8652FF52 00FFFFFF
	s_cmp_lt_u32 s82, s66                                      // 000000011804: BF0A4252
	s_cselect_b32 s20, s36, s60                                // 000000011808: 85143C24
	v_readlane_b32 s82, v3, 15                                 // 00000001180C: D2890052 00011F03
	s_and_b32 s82, s82, 0xffffff                               // 000000011814: 8652FF52 00FFFFFF
	s_cmp_lt_u32 s82, s66                                      // 00000001181C: BF0A4252
	s_cselect_b32 s21, s36, s60                                // 000000011820: 85153C24
	s_mov_b64 exec, s[20:21]                                   // 000000011824: BEFE0114
	global_atomic_add_f32 v6, v193, s[8:9]                     // 000000011828: DD348000 0008C106
	global_atomic_add_f32 v6, v197, s[8:9] offset:256          // 000000011830: DD348100 0008C506
	global_atomic_add_f32 v6, v201, s[8:9] offset:512          // 000000011838: DD348200 0008C906
	global_atomic_add_f32 v6, v205, s[8:9] offset:768          // 000000011840: DD348300 0008CD06
	s_mov_b64 exec, s[36:37]                                   // 000000011848: BEFE0124
	v_mov_b32_e32 v6, v58                                      // 00000001184C: 7E0C033A
	s_mov_b64 s[60:61], 0                                      // 000000011850: BEBC0180
	v_readlane_b32 s82, v3, 16                                 // 000000011854: D2890052 00012103
	s_and_b32 s82, s82, 0xffffff                               // 00000001185C: 8652FF52 00FFFFFF
	s_cmp_lt_u32 s82, s66                                      // 000000011864: BF0A4252
	s_cselect_b32 s20, s36, s60                                // 000000011868: 85143C24
	v_readlane_b32 s82, v3, 17                                 // 00000001186C: D2890052 00012303
	s_and_b32 s82, s82, 0xffffff                               // 000000011874: 8652FF52 00FFFFFF
	s_cmp_lt_u32 s82, s66                                      // 00000001187C: BF0A4252
	s_cselect_b32 s21, s36, s60                                // 000000011880: 85153C24
	s_mov_b64 exec, s[20:21]                                   // 000000011884: BEFE0114
	global_atomic_add_f32 v6, v208, s[8:9]                     // 000000011888: DD348000 0008D006
	global_atomic_add_f32 v6, v212, s[8:9] offset:256          // 000000011890: DD348100 0008D406
	global_atomic_add_f32 v6, v216, s[8:9] offset:512          // 000000011898: DD348200 0008D806
	global_atomic_add_f32 v6, v220, s[8:9] offset:768          // 0000000118A0: DD348300 0008DC06
	s_mov_b64 exec, s[36:37]                                   // 0000000118A8: BEFE0124
	v_mov_b32_e32 v6, v59                                      // 0000000118AC: 7E0C033B
	s_mov_b64 s[60:61], 0                                      // 0000000118B0: BEBC0180
	v_readlane_b32 s82, v3, 18                                 // 0000000118B4: D2890052 00012503
	s_and_b32 s82, s82, 0xffffff                               // 0000000118BC: 8652FF52 00FFFFFF
	s_cmp_lt_u32 s82, s66                                      // 0000000118C4: BF0A4252
	s_cselect_b32 s20, s36, s60                                // 0000000118C8: 85143C24
	v_readlane_b32 s82, v3, 19                                 // 0000000118CC: D2890052 00012703
	s_and_b32 s82, s82, 0xffffff                               // 0000000118D4: 8652FF52 00FFFFFF
	s_cmp_lt_u32 s82, s66                                      // 0000000118DC: BF0A4252
	s_cselect_b32 s21, s36, s60                                // 0000000118E0: 85153C24
	s_mov_b64 exec, s[20:21]                                   // 0000000118E4: BEFE0114
	global_atomic_add_f32 v6, v209, s[8:9]                     // 0000000118E8: DD348000 0008D106
	global_atomic_add_f32 v6, v213, s[8:9] offset:256          // 0000000118F0: DD348100 0008D506
	global_atomic_add_f32 v6, v217, s[8:9] offset:512          // 0000000118F8: DD348200 0008D906
	global_atomic_add_f32 v6, v221, s[8:9] offset:768          // 000000011900: DD348300 0008DD06
	s_mov_b64 exec, s[36:37]                                   // 000000011908: BEFE0124
	ds_write_b64 v20, v[146:147]                               // 00000001190C: D89A0000 00009214
	ds_write_b64 v20, v[150:151] offset:8704                   // 000000011914: D89A2200 00009614
	ds_write_b64 v20, v[154:155] offset:17408                  // 00000001191C: D89A4400 00009A14
	ds_write_b64 v20, v[158:159] offset:26112                  // 000000011924: D89A6600 00009E14
	ds_write_b64 v20, v[162:163] offset:34816                  // 00000001192C: D89A8800 0000A214
	ds_write_b64 v20, v[166:167] offset:2176                   // 000000011934: D89A0880 0000A614
	ds_write_b64 v20, v[170:171] offset:10880                  // 00000001193C: D89A2A80 0000AA14
	ds_write_b64 v20, v[174:175] offset:19584                  // 000000011944: D89A4C80 0000AE14
	ds_write_b64 v20, v[178:179] offset:28288                  // 00000001194C: D89A6E80 0000B214
	ds_write_b64 v20, v[182:183] offset:36992                  // 000000011954: D89A9080 0000B614
	ds_write_b64 v20, v[186:187] offset:4352                   // 00000001195C: D89A1100 0000BA14
	ds_write_b64 v20, v[190:191] offset:13056                  // 000000011964: D89A3300 0000BE14
	ds_write_b64 v20, v[194:195] offset:21760                  // 00000001196C: D89A5500 0000C214
	ds_write_b64 v20, v[198:199] offset:30464                  // 000000011974: D89A7700 0000C614
	ds_write_b64 v20, v[202:203] offset:39168                  // 00000001197C: D89A9900 0000CA14
	ds_write_b64 v20, v[206:207] offset:6528                   // 000000011984: D89A1980 0000CE14
	ds_write_b64 v20, v[210:211] offset:15232                  // 00000001198C: D89A3B80 0000D214
	ds_write_b64 v20, v[214:215] offset:23936                  // 000000011994: D89A5D80 0000D614
	ds_write_b64 v20, v[218:219] offset:32640                  // 00000001199C: D89A7F80 0000DA14
	ds_write_b64 v20, v[222:223] offset:41344                  // 0000000119A4: D89AA180 0000DE14
	s_waitcnt lgkmcnt(0)                                       // 0000000119AC: BF8CC07F
	s_barrier                                                  // 0000000119B0: BF8A0000
	ds_read_b32 v146, v21                                      // 0000000119B4: D86C0000 92000015
	ds_read_b32 v147, v21 offset:64                            // 0000000119BC: D86C0040 93000015
	ds_read_b32 v150, v21 offset:2176                          // 0000000119C4: D86C0880 96000015
	ds_read_b32 v151, v21 offset:2240                          // 0000000119CC: D86C08C0 97000015
	ds_read_b32 v154, v21 offset:4352                          // 0000000119D4: D86C1100 9A000015
	ds_read_b32 v155, v21 offset:4416                          // 0000000119DC: D86C1140 9B000015
	ds_read_b32 v158, v21 offset:6528                          // 0000000119E4: D86C1980 9E000015
	ds_read_b32 v159, v21 offset:6592                          // 0000000119EC: D86C19C0 9F000015
	ds_read_b32 v162, v21 offset:8704                          // 0000000119F4: D86C2200 A2000015
	ds_read_b32 v163, v21 offset:8768                          // 0000000119FC: D86C2240 A3000015
	ds_read_b32 v166, v21 offset:10880                         // 000000011A04: D86C2A80 A6000015
	ds_read_b32 v167, v21 offset:10944                         // 000000011A0C: D86C2AC0 A7000015
	ds_read_b32 v170, v21 offset:13056                         // 000000011A14: D86C3300 AA000015
	ds_read_b32 v171, v21 offset:13120                         // 000000011A1C: D86C3340 AB000015
	ds_read_b32 v174, v21 offset:15232                         // 000000011A24: D86C3B80 AE000015
	ds_read_b32 v175, v21 offset:15296                         // 000000011A2C: D86C3BC0 AF000015
	ds_read_b32 v178, v21 offset:17408                         // 000000011A34: D86C4400 B2000015
	ds_read_b32 v179, v21 offset:17472                         // 000000011A3C: D86C4440 B3000015
	ds_read_b32 v182, v21 offset:19584                         // 000000011A44: D86C4C80 B6000015
	ds_read_b32 v183, v21 offset:19648                         // 000000011A4C: D86C4CC0 B7000015
	ds_read_b32 v186, v21 offset:21760                         // 000000011A54: D86C5500 BA000015
	ds_read_b32 v187, v21 offset:21824                         // 000000011A5C: D86C5540 BB000015
	ds_read_b32 v190, v21 offset:23936                         // 000000011A64: D86C5D80 BE000015
	ds_read_b32 v191, v21 offset:24000                         // 000000011A6C: D86C5DC0 BF000015
	ds_read_b32 v194, v21 offset:26112                         // 000000011A74: D86C6600 C2000015
	ds_read_b32 v195, v21 offset:26176                         // 000000011A7C: D86C6640 C3000015
	ds_read_b32 v198, v21 offset:28288                         // 000000011A84: D86C6E80 C6000015
	ds_read_b32 v199, v21 offset:28352                         // 000000011A8C: D86C6EC0 C7000015
	ds_read_b32 v202, v21 offset:30464                         // 000000011A94: D86C7700 CA000015
	ds_read_b32 v203, v21 offset:30528                         // 000000011A9C: D86C7740 CB000015
	ds_read_b32 v206, v21 offset:32640                         // 000000011AA4: D86C7F80 CE000015
	ds_read_b32 v207, v21 offset:32704                         // 000000011AAC: D86C7FC0 CF000015
	ds_read_b32 v210, v21 offset:34816                         // 000000011AB4: D86C8800 D2000015
	ds_read_b32 v211, v21 offset:34880                         // 000000011ABC: D86C8840 D3000015
	ds_read_b32 v214, v21 offset:36992                         // 000000011AC4: D86C9080 D6000015
	ds_read_b32 v215, v21 offset:37056                         // 000000011ACC: D86C90C0 D7000015
	ds_read_b32 v218, v21 offset:39168                         // 000000011AD4: D86C9900 DA000015
	ds_read_b32 v219, v21 offset:39232                         // 000000011ADC: D86C9940 DB000015
	ds_read_b32 v222, v21 offset:41344                         // 000000011AE4: D86CA180 DE000015
	ds_read_b32 v223, v21 offset:41408                         // 000000011AEC: D86CA1C0 DF000015
	s_waitcnt lgkmcnt(0)                                       // 000000011AF4: BF8CC07F
	v_mov_b32_e32 v7, 0                                        // 000000011AF8: 7E0E0280
	s_mov_b64 exec, s[36:37]                                   // 000000011AFC: BEFE0124
	v_mov_b32_e32 v6, v50                                      // 000000011B00: 7E0C0332
	s_mov_b64 s[60:61], 0                                      // 000000011B04: BEBC0180
	v_readlane_b32 s82, v3, 0                                  // 000000011B08: D2890052 00010103
	s_and_b32 s82, s82, 0xffffff                               // 000000011B10: 8652FF52 00FFFFFF
	s_cmp_lt_u32 s82, s66                                      // 000000011B18: BF0A4252
	s_cselect_b32 s20, s36, s60                                // 000000011B1C: 85143C24
	v_readlane_b32 s82, v3, 1                                  // 000000011B20: D2890052 00010303
	s_and_b32 s82, s82, 0xffffff                               // 000000011B28: 8652FF52 00FFFFFF
	s_cmp_lt_u32 s82, s66                                      // 000000011B30: BF0A4252
	s_cselect_b32 s21, s36, s60                                // 000000011B34: 85153C24
	s_mov_b64 exec, s[20:21]                                   // 000000011B38: BEFE0114
	global_atomic_add_f32 v6, v146, s[8:9] offset:8            // 000000011B3C: DD348008 00089206
	global_atomic_add_f32 v6, v150, s[8:9] offset:264          // 000000011B44: DD348108 00089606
	global_atomic_add_f32 v6, v154, s[8:9] offset:520          // 000000011B4C: DD348208 00089A06
	global_atomic_add_f32 v6, v158, s[8:9] offset:776          // 000000011B54: DD348308 00089E06
	s_mov_b64 exec, s[36:37]                                   // 000000011B5C: BEFE0124
	v_mov_b32_e32 v6, v51                                      // 000000011B60: 7E0C0333
	s_mov_b64 s[60:61], 0                                      // 000000011B64: BEBC0180
	v_readlane_b32 s82, v3, 2                                  // 000000011B68: D2890052 00010503
	s_and_b32 s82, s82, 0xffffff                               // 000000011B70: 8652FF52 00FFFFFF
	s_cmp_lt_u32 s82, s66                                      // 000000011B78: BF0A4252
	s_cselect_b32 s20, s36, s60                                // 000000011B7C: 85143C24
	v_readlane_b32 s82, v3, 3                                  // 000000011B80: D2890052 00010703
	s_and_b32 s82, s82, 0xffffff                               // 000000011B88: 8652FF52 00FFFFFF
	s_cmp_lt_u32 s82, s66                                      // 000000011B90: BF0A4252
	s_cselect_b32 s21, s36, s60                                // 000000011B94: 85153C24
	s_mov_b64 exec, s[20:21]                                   // 000000011B98: BEFE0114
	global_atomic_add_f32 v6, v147, s[8:9] offset:8            // 000000011B9C: DD348008 00089306
	global_atomic_add_f32 v6, v151, s[8:9] offset:264          // 000000011BA4: DD348108 00089706
	global_atomic_add_f32 v6, v155, s[8:9] offset:520          // 000000011BAC: DD348208 00089B06
	global_atomic_add_f32 v6, v159, s[8:9] offset:776          // 000000011BB4: DD348308 00089F06
	s_mov_b64 exec, s[36:37]                                   // 000000011BBC: BEFE0124
	v_mov_b32_e32 v6, v52                                      // 000000011BC0: 7E0C0334
	s_mov_b64 s[60:61], 0                                      // 000000011BC4: BEBC0180
	v_readlane_b32 s82, v3, 4                                  // 000000011BC8: D2890052 00010903
	s_and_b32 s82, s82, 0xffffff                               // 000000011BD0: 8652FF52 00FFFFFF
	s_cmp_lt_u32 s82, s66                                      // 000000011BD8: BF0A4252
	s_cselect_b32 s20, s36, s60                                // 000000011BDC: 85143C24
	v_readlane_b32 s82, v3, 5                                  // 000000011BE0: D2890052 00010B03
	s_and_b32 s82, s82, 0xffffff                               // 000000011BE8: 8652FF52 00FFFFFF
	s_cmp_lt_u32 s82, s66                                      // 000000011BF0: BF0A4252
	s_cselect_b32 s21, s36, s60                                // 000000011BF4: 85153C24
	s_mov_b64 exec, s[20:21]                                   // 000000011BF8: BEFE0114
	global_atomic_add_f32 v6, v162, s[8:9] offset:8            // 000000011BFC: DD348008 0008A206
	global_atomic_add_f32 v6, v166, s[8:9] offset:264          // 000000011C04: DD348108 0008A606
	global_atomic_add_f32 v6, v170, s[8:9] offset:520          // 000000011C0C: DD348208 0008AA06
	global_atomic_add_f32 v6, v174, s[8:9] offset:776          // 000000011C14: DD348308 0008AE06
	s_mov_b64 exec, s[36:37]                                   // 000000011C1C: BEFE0124
	v_mov_b32_e32 v6, v53                                      // 000000011C20: 7E0C0335
	s_mov_b64 s[60:61], 0                                      // 000000011C24: BEBC0180
	v_readlane_b32 s82, v3, 6                                  // 000000011C28: D2890052 00010D03
	s_and_b32 s82, s82, 0xffffff                               // 000000011C30: 8652FF52 00FFFFFF
	s_cmp_lt_u32 s82, s66                                      // 000000011C38: BF0A4252
	s_cselect_b32 s20, s36, s60                                // 000000011C3C: 85143C24
	v_readlane_b32 s82, v3, 7                                  // 000000011C40: D2890052 00010F03
	s_and_b32 s82, s82, 0xffffff                               // 000000011C48: 8652FF52 00FFFFFF
	s_cmp_lt_u32 s82, s66                                      // 000000011C50: BF0A4252
	s_cselect_b32 s21, s36, s60                                // 000000011C54: 85153C24
	s_mov_b64 exec, s[20:21]                                   // 000000011C58: BEFE0114
	global_atomic_add_f32 v6, v163, s[8:9] offset:8            // 000000011C5C: DD348008 0008A306
	global_atomic_add_f32 v6, v167, s[8:9] offset:264          // 000000011C64: DD348108 0008A706
	global_atomic_add_f32 v6, v171, s[8:9] offset:520          // 000000011C6C: DD348208 0008AB06
	global_atomic_add_f32 v6, v175, s[8:9] offset:776          // 000000011C74: DD348308 0008AF06
	s_mov_b64 exec, s[36:37]                                   // 000000011C7C: BEFE0124
	v_mov_b32_e32 v6, v54                                      // 000000011C80: 7E0C0336
	s_mov_b64 s[60:61], 0                                      // 000000011C84: BEBC0180
	v_readlane_b32 s82, v3, 8                                  // 000000011C88: D2890052 00011103
	s_and_b32 s82, s82, 0xffffff                               // 000000011C90: 8652FF52 00FFFFFF
	s_cmp_lt_u32 s82, s66                                      // 000000011C98: BF0A4252
	s_cselect_b32 s20, s36, s60                                // 000000011C9C: 85143C24
	v_readlane_b32 s82, v3, 9                                  // 000000011CA0: D2890052 00011303
	s_and_b32 s82, s82, 0xffffff                               // 000000011CA8: 8652FF52 00FFFFFF
	s_cmp_lt_u32 s82, s66                                      // 000000011CB0: BF0A4252
	s_cselect_b32 s21, s36, s60                                // 000000011CB4: 85153C24
	s_mov_b64 exec, s[20:21]                                   // 000000011CB8: BEFE0114
	global_atomic_add_f32 v6, v178, s[8:9] offset:8            // 000000011CBC: DD348008 0008B206
	global_atomic_add_f32 v6, v182, s[8:9] offset:264          // 000000011CC4: DD348108 0008B606
	global_atomic_add_f32 v6, v186, s[8:9] offset:520          // 000000011CCC: DD348208 0008BA06
	global_atomic_add_f32 v6, v190, s[8:9] offset:776          // 000000011CD4: DD348308 0008BE06
	s_mov_b64 exec, s[36:37]                                   // 000000011CDC: BEFE0124
	v_mov_b32_e32 v6, v55                                      // 000000011CE0: 7E0C0337
	s_mov_b64 s[60:61], 0                                      // 000000011CE4: BEBC0180
	v_readlane_b32 s82, v3, 10                                 // 000000011CE8: D2890052 00011503
	s_and_b32 s82, s82, 0xffffff                               // 000000011CF0: 8652FF52 00FFFFFF
	s_cmp_lt_u32 s82, s66                                      // 000000011CF8: BF0A4252
	s_cselect_b32 s20, s36, s60                                // 000000011CFC: 85143C24
	v_readlane_b32 s82, v3, 11                                 // 000000011D00: D2890052 00011703
	s_and_b32 s82, s82, 0xffffff                               // 000000011D08: 8652FF52 00FFFFFF
	s_cmp_lt_u32 s82, s66                                      // 000000011D10: BF0A4252
	s_cselect_b32 s21, s36, s60                                // 000000011D14: 85153C24
	s_mov_b64 exec, s[20:21]                                   // 000000011D18: BEFE0114
	global_atomic_add_f32 v6, v179, s[8:9] offset:8            // 000000011D1C: DD348008 0008B306
	global_atomic_add_f32 v6, v183, s[8:9] offset:264          // 000000011D24: DD348108 0008B706
	global_atomic_add_f32 v6, v187, s[8:9] offset:520          // 000000011D2C: DD348208 0008BB06
	global_atomic_add_f32 v6, v191, s[8:9] offset:776          // 000000011D34: DD348308 0008BF06
	s_mov_b64 exec, s[36:37]                                   // 000000011D3C: BEFE0124
	v_mov_b32_e32 v6, v56                                      // 000000011D40: 7E0C0338
	s_mov_b64 s[60:61], 0                                      // 000000011D44: BEBC0180
	v_readlane_b32 s82, v3, 12                                 // 000000011D48: D2890052 00011903
	s_and_b32 s82, s82, 0xffffff                               // 000000011D50: 8652FF52 00FFFFFF
	s_cmp_lt_u32 s82, s66                                      // 000000011D58: BF0A4252
	s_cselect_b32 s20, s36, s60                                // 000000011D5C: 85143C24
	v_readlane_b32 s82, v3, 13                                 // 000000011D60: D2890052 00011B03
	s_and_b32 s82, s82, 0xffffff                               // 000000011D68: 8652FF52 00FFFFFF
	s_cmp_lt_u32 s82, s66                                      // 000000011D70: BF0A4252
	s_cselect_b32 s21, s36, s60                                // 000000011D74: 85153C24
	s_mov_b64 exec, s[20:21]                                   // 000000011D78: BEFE0114
	global_atomic_add_f32 v6, v194, s[8:9] offset:8            // 000000011D7C: DD348008 0008C206
	global_atomic_add_f32 v6, v198, s[8:9] offset:264          // 000000011D84: DD348108 0008C606
	global_atomic_add_f32 v6, v202, s[8:9] offset:520          // 000000011D8C: DD348208 0008CA06
	global_atomic_add_f32 v6, v206, s[8:9] offset:776          // 000000011D94: DD348308 0008CE06
	s_mov_b64 exec, s[36:37]                                   // 000000011D9C: BEFE0124
	v_mov_b32_e32 v6, v57                                      // 000000011DA0: 7E0C0339
	s_mov_b64 s[60:61], 0                                      // 000000011DA4: BEBC0180
	v_readlane_b32 s82, v3, 14                                 // 000000011DA8: D2890052 00011D03
	s_and_b32 s82, s82, 0xffffff                               // 000000011DB0: 8652FF52 00FFFFFF
	s_cmp_lt_u32 s82, s66                                      // 000000011DB8: BF0A4252
	s_cselect_b32 s20, s36, s60                                // 000000011DBC: 85143C24
	v_readlane_b32 s82, v3, 15                                 // 000000011DC0: D2890052 00011F03
	s_and_b32 s82, s82, 0xffffff                               // 000000011DC8: 8652FF52 00FFFFFF
	s_cmp_lt_u32 s82, s66                                      // 000000011DD0: BF0A4252
	s_cselect_b32 s21, s36, s60                                // 000000011DD4: 85153C24
	s_mov_b64 exec, s[20:21]                                   // 000000011DD8: BEFE0114
	global_atomic_add_f32 v6, v195, s[8:9] offset:8            // 000000011DDC: DD348008 0008C306
	global_atomic_add_f32 v6, v199, s[8:9] offset:264          // 000000011DE4: DD348108 0008C706
	global_atomic_add_f32 v6, v203, s[8:9] offset:520          // 000000011DEC: DD348208 0008CB06
	global_atomic_add_f32 v6, v207, s[8:9] offset:776          // 000000011DF4: DD348308 0008CF06
	s_mov_b64 exec, s[36:37]                                   // 000000011DFC: BEFE0124
	v_mov_b32_e32 v6, v58                                      // 000000011E00: 7E0C033A
	s_mov_b64 s[60:61], 0                                      // 000000011E04: BEBC0180
	v_readlane_b32 s82, v3, 16                                 // 000000011E08: D2890052 00012103
	s_and_b32 s82, s82, 0xffffff                               // 000000011E10: 8652FF52 00FFFFFF
	s_cmp_lt_u32 s82, s66                                      // 000000011E18: BF0A4252
	s_cselect_b32 s20, s36, s60                                // 000000011E1C: 85143C24
	v_readlane_b32 s82, v3, 17                                 // 000000011E20: D2890052 00012303
	s_and_b32 s82, s82, 0xffffff                               // 000000011E28: 8652FF52 00FFFFFF
	s_cmp_lt_u32 s82, s66                                      // 000000011E30: BF0A4252
	s_cselect_b32 s21, s36, s60                                // 000000011E34: 85153C24
	s_mov_b64 exec, s[20:21]                                   // 000000011E38: BEFE0114
	global_atomic_add_f32 v6, v210, s[8:9] offset:8            // 000000011E3C: DD348008 0008D206
	global_atomic_add_f32 v6, v214, s[8:9] offset:264          // 000000011E44: DD348108 0008D606
	global_atomic_add_f32 v6, v218, s[8:9] offset:520          // 000000011E4C: DD348208 0008DA06
	global_atomic_add_f32 v6, v222, s[8:9] offset:776          // 000000011E54: DD348308 0008DE06
	s_mov_b64 exec, s[36:37]                                   // 000000011E5C: BEFE0124
	v_mov_b32_e32 v6, v59                                      // 000000011E60: 7E0C033B
	s_mov_b64 s[60:61], 0                                      // 000000011E64: BEBC0180
	v_readlane_b32 s82, v3, 18                                 // 000000011E68: D2890052 00012503
	s_and_b32 s82, s82, 0xffffff                               // 000000011E70: 8652FF52 00FFFFFF
	s_cmp_lt_u32 s82, s66                                      // 000000011E78: BF0A4252
	s_cselect_b32 s20, s36, s60                                // 000000011E7C: 85143C24
	v_readlane_b32 s82, v3, 19                                 // 000000011E80: D2890052 00012703
	s_and_b32 s82, s82, 0xffffff                               // 000000011E88: 8652FF52 00FFFFFF
	s_cmp_lt_u32 s82, s66                                      // 000000011E90: BF0A4252
	s_cselect_b32 s21, s36, s60                                // 000000011E94: 85153C24
	s_mov_b64 exec, s[20:21]                                   // 000000011E98: BEFE0114
	global_atomic_add_f32 v6, v211, s[8:9] offset:8            // 000000011E9C: DD348008 0008D306
	global_atomic_add_f32 v6, v215, s[8:9] offset:264          // 000000011EA4: DD348108 0008D706
	global_atomic_add_f32 v6, v219, s[8:9] offset:520          // 000000011EAC: DD348208 0008DB06
	global_atomic_add_f32 v6, v223, s[8:9] offset:776          // 000000011EB4: DD348308 0008DF06
	s_mov_b64 exec, s[36:37]                                   // 000000011EBC: BEFE0124
	s_branch label_3D34                                        // 000000011EC0: BF820000

0000000000011ec4 <label_3D34>:
	s_waitcnt vmcnt(0) expcnt(0) lgkmcnt(0)                    // 000000011EC4: BF8C0000
	s_endpgm                                                   // 000000011EC8: BF810000
